;; amdgpu-corpus repo=ROCm/hip-tests kind=compiled arch=gfx1201 opt=O3
	.amdgcn_target "amdgcn-amd-amdhsa--gfx1201"
	.amdhsa_code_object_version 6
	.section	.text._Z19cvt_float_fp8_floatIfLb1EEvPT_m,"axG",@progbits,_Z19cvt_float_fp8_floatIfLb1EEvPT_m,comdat
	.protected	_Z19cvt_float_fp8_floatIfLb1EEvPT_m ; -- Begin function _Z19cvt_float_fp8_floatIfLb1EEvPT_m
	.globl	_Z19cvt_float_fp8_floatIfLb1EEvPT_m
	.p2align	8
	.type	_Z19cvt_float_fp8_floatIfLb1EEvPT_m,@function
_Z19cvt_float_fp8_floatIfLb1EEvPT_m:    ; @_Z19cvt_float_fp8_floatIfLb1EEvPT_m
; %bb.0:
	s_load_b128 s[0:3], s[0:1], 0x0
	v_mov_b32_e32 v1, 0
	s_wait_kmcnt 0x0
	s_delay_alu instid0(VALU_DEP_1)
	v_cmp_gt_u64_e32 vcc_lo, s[2:3], v[0:1]
	s_and_saveexec_b32 s2, vcc_lo
	s_cbranch_execz .LBB0_2
; %bb.1:
	v_lshlrev_b32_e32 v0, 2, v0
	s_mov_b32 s2, 0x43e00000
	global_load_b32 v2, v0, s[0:1]
	s_wait_loadcnt 0x0
	s_wait_alu 0xfffe
	v_med3_num_f32 v3, v2, s2, 0xc3e00000
	v_cmp_nlg_f32_e64 vcc_lo, 0x7f800000, |v2|
	s_delay_alu instid0(VALU_DEP_2) | instskip(NEXT) | instid1(VALU_DEP_1)
	v_cndmask_b32_e32 v2, v3, v2, vcc_lo
	v_cvt_pk_fp8_f32 v1, v2, v2
	s_delay_alu instid0(VALU_DEP_1) | instskip(NEXT) | instid1(VALU_DEP_1)
	v_and_b32_e32 v1, 0xff, v1
	v_cvt_f32_fp8_e32 v1, v1
	global_store_b32 v0, v1, s[0:1]
.LBB0_2:
	s_endpgm
	.section	.rodata,"a",@progbits
	.p2align	6, 0x0
	.amdhsa_kernel _Z19cvt_float_fp8_floatIfLb1EEvPT_m
		.amdhsa_group_segment_fixed_size 0
		.amdhsa_private_segment_fixed_size 0
		.amdhsa_kernarg_size 16
		.amdhsa_user_sgpr_count 2
		.amdhsa_user_sgpr_dispatch_ptr 0
		.amdhsa_user_sgpr_queue_ptr 0
		.amdhsa_user_sgpr_kernarg_segment_ptr 1
		.amdhsa_user_sgpr_dispatch_id 0
		.amdhsa_user_sgpr_private_segment_size 0
		.amdhsa_wavefront_size32 1
		.amdhsa_uses_dynamic_stack 0
		.amdhsa_enable_private_segment 0
		.amdhsa_system_sgpr_workgroup_id_x 1
		.amdhsa_system_sgpr_workgroup_id_y 0
		.amdhsa_system_sgpr_workgroup_id_z 0
		.amdhsa_system_sgpr_workgroup_info 0
		.amdhsa_system_vgpr_workitem_id 0
		.amdhsa_next_free_vgpr 4
		.amdhsa_next_free_sgpr 4
		.amdhsa_reserve_vcc 1
		.amdhsa_float_round_mode_32 0
		.amdhsa_float_round_mode_16_64 0
		.amdhsa_float_denorm_mode_32 3
		.amdhsa_float_denorm_mode_16_64 3
		.amdhsa_fp16_overflow 0
		.amdhsa_workgroup_processor_mode 1
		.amdhsa_memory_ordered 1
		.amdhsa_forward_progress 1
		.amdhsa_inst_pref_size 2
		.amdhsa_round_robin_scheduling 0
		.amdhsa_exception_fp_ieee_invalid_op 0
		.amdhsa_exception_fp_denorm_src 0
		.amdhsa_exception_fp_ieee_div_zero 0
		.amdhsa_exception_fp_ieee_overflow 0
		.amdhsa_exception_fp_ieee_underflow 0
		.amdhsa_exception_fp_ieee_inexact 0
		.amdhsa_exception_int_div_zero 0
	.end_amdhsa_kernel
	.section	.text._Z19cvt_float_fp8_floatIfLb1EEvPT_m,"axG",@progbits,_Z19cvt_float_fp8_floatIfLb1EEvPT_m,comdat
.Lfunc_end0:
	.size	_Z19cvt_float_fp8_floatIfLb1EEvPT_m, .Lfunc_end0-_Z19cvt_float_fp8_floatIfLb1EEvPT_m
                                        ; -- End function
	.set _Z19cvt_float_fp8_floatIfLb1EEvPT_m.num_vgpr, 4
	.set _Z19cvt_float_fp8_floatIfLb1EEvPT_m.num_agpr, 0
	.set _Z19cvt_float_fp8_floatIfLb1EEvPT_m.numbered_sgpr, 4
	.set _Z19cvt_float_fp8_floatIfLb1EEvPT_m.num_named_barrier, 0
	.set _Z19cvt_float_fp8_floatIfLb1EEvPT_m.private_seg_size, 0
	.set _Z19cvt_float_fp8_floatIfLb1EEvPT_m.uses_vcc, 1
	.set _Z19cvt_float_fp8_floatIfLb1EEvPT_m.uses_flat_scratch, 0
	.set _Z19cvt_float_fp8_floatIfLb1EEvPT_m.has_dyn_sized_stack, 0
	.set _Z19cvt_float_fp8_floatIfLb1EEvPT_m.has_recursion, 0
	.set _Z19cvt_float_fp8_floatIfLb1EEvPT_m.has_indirect_call, 0
	.section	.AMDGPU.csdata,"",@progbits
; Kernel info:
; codeLenInByte = 136
; TotalNumSgprs: 6
; NumVgprs: 4
; ScratchSize: 0
; MemoryBound: 0
; FloatMode: 240
; IeeeMode: 1
; LDSByteSize: 0 bytes/workgroup (compile time only)
; SGPRBlocks: 0
; VGPRBlocks: 0
; NumSGPRsForWavesPerEU: 6
; NumVGPRsForWavesPerEU: 4
; Occupancy: 16
; WaveLimiterHint : 0
; COMPUTE_PGM_RSRC2:SCRATCH_EN: 0
; COMPUTE_PGM_RSRC2:USER_SGPR: 2
; COMPUTE_PGM_RSRC2:TRAP_HANDLER: 0
; COMPUTE_PGM_RSRC2:TGID_X_EN: 1
; COMPUTE_PGM_RSRC2:TGID_Y_EN: 0
; COMPUTE_PGM_RSRC2:TGID_Z_EN: 0
; COMPUTE_PGM_RSRC2:TIDIG_COMP_CNT: 0
	.section	.text._Z19cvt_float_fp8_floatIfLb0EEvPT_m,"axG",@progbits,_Z19cvt_float_fp8_floatIfLb0EEvPT_m,comdat
	.protected	_Z19cvt_float_fp8_floatIfLb0EEvPT_m ; -- Begin function _Z19cvt_float_fp8_floatIfLb0EEvPT_m
	.globl	_Z19cvt_float_fp8_floatIfLb0EEvPT_m
	.p2align	8
	.type	_Z19cvt_float_fp8_floatIfLb0EEvPT_m,@function
_Z19cvt_float_fp8_floatIfLb0EEvPT_m:    ; @_Z19cvt_float_fp8_floatIfLb0EEvPT_m
; %bb.0:
	s_load_b128 s[0:3], s[0:1], 0x0
	v_mov_b32_e32 v1, 0
	s_wait_kmcnt 0x0
	s_delay_alu instid0(VALU_DEP_1)
	v_cmp_gt_u64_e32 vcc_lo, s[2:3], v[0:1]
	s_and_saveexec_b32 s2, vcc_lo
	s_cbranch_execz .LBB1_2
; %bb.1:
	v_lshlrev_b32_e32 v0, 2, v0
	s_mov_b32 s2, 0x47600000
	global_load_b32 v2, v0, s[0:1]
	s_wait_loadcnt 0x0
	s_wait_alu 0xfffe
	v_med3_num_f32 v3, v2, s2, 0xc7600000
	v_cmp_nlg_f32_e64 vcc_lo, 0x7f800000, |v2|
	s_delay_alu instid0(VALU_DEP_2) | instskip(NEXT) | instid1(VALU_DEP_1)
	v_cndmask_b32_e32 v2, v3, v2, vcc_lo
	v_cvt_pk_bf8_f32 v1, v2, v2
	s_delay_alu instid0(VALU_DEP_1) | instskip(NEXT) | instid1(VALU_DEP_1)
	v_and_b32_e32 v1, 0xff, v1
	v_cvt_f32_bf8_e32 v1, v1
	global_store_b32 v0, v1, s[0:1]
.LBB1_2:
	s_endpgm
	.section	.rodata,"a",@progbits
	.p2align	6, 0x0
	.amdhsa_kernel _Z19cvt_float_fp8_floatIfLb0EEvPT_m
		.amdhsa_group_segment_fixed_size 0
		.amdhsa_private_segment_fixed_size 0
		.amdhsa_kernarg_size 16
		.amdhsa_user_sgpr_count 2
		.amdhsa_user_sgpr_dispatch_ptr 0
		.amdhsa_user_sgpr_queue_ptr 0
		.amdhsa_user_sgpr_kernarg_segment_ptr 1
		.amdhsa_user_sgpr_dispatch_id 0
		.amdhsa_user_sgpr_private_segment_size 0
		.amdhsa_wavefront_size32 1
		.amdhsa_uses_dynamic_stack 0
		.amdhsa_enable_private_segment 0
		.amdhsa_system_sgpr_workgroup_id_x 1
		.amdhsa_system_sgpr_workgroup_id_y 0
		.amdhsa_system_sgpr_workgroup_id_z 0
		.amdhsa_system_sgpr_workgroup_info 0
		.amdhsa_system_vgpr_workitem_id 0
		.amdhsa_next_free_vgpr 4
		.amdhsa_next_free_sgpr 4
		.amdhsa_reserve_vcc 1
		.amdhsa_float_round_mode_32 0
		.amdhsa_float_round_mode_16_64 0
		.amdhsa_float_denorm_mode_32 3
		.amdhsa_float_denorm_mode_16_64 3
		.amdhsa_fp16_overflow 0
		.amdhsa_workgroup_processor_mode 1
		.amdhsa_memory_ordered 1
		.amdhsa_forward_progress 1
		.amdhsa_inst_pref_size 2
		.amdhsa_round_robin_scheduling 0
		.amdhsa_exception_fp_ieee_invalid_op 0
		.amdhsa_exception_fp_denorm_src 0
		.amdhsa_exception_fp_ieee_div_zero 0
		.amdhsa_exception_fp_ieee_overflow 0
		.amdhsa_exception_fp_ieee_underflow 0
		.amdhsa_exception_fp_ieee_inexact 0
		.amdhsa_exception_int_div_zero 0
	.end_amdhsa_kernel
	.section	.text._Z19cvt_float_fp8_floatIfLb0EEvPT_m,"axG",@progbits,_Z19cvt_float_fp8_floatIfLb0EEvPT_m,comdat
.Lfunc_end1:
	.size	_Z19cvt_float_fp8_floatIfLb0EEvPT_m, .Lfunc_end1-_Z19cvt_float_fp8_floatIfLb0EEvPT_m
                                        ; -- End function
	.set _Z19cvt_float_fp8_floatIfLb0EEvPT_m.num_vgpr, 4
	.set _Z19cvt_float_fp8_floatIfLb0EEvPT_m.num_agpr, 0
	.set _Z19cvt_float_fp8_floatIfLb0EEvPT_m.numbered_sgpr, 4
	.set _Z19cvt_float_fp8_floatIfLb0EEvPT_m.num_named_barrier, 0
	.set _Z19cvt_float_fp8_floatIfLb0EEvPT_m.private_seg_size, 0
	.set _Z19cvt_float_fp8_floatIfLb0EEvPT_m.uses_vcc, 1
	.set _Z19cvt_float_fp8_floatIfLb0EEvPT_m.uses_flat_scratch, 0
	.set _Z19cvt_float_fp8_floatIfLb0EEvPT_m.has_dyn_sized_stack, 0
	.set _Z19cvt_float_fp8_floatIfLb0EEvPT_m.has_recursion, 0
	.set _Z19cvt_float_fp8_floatIfLb0EEvPT_m.has_indirect_call, 0
	.section	.AMDGPU.csdata,"",@progbits
; Kernel info:
; codeLenInByte = 136
; TotalNumSgprs: 6
; NumVgprs: 4
; ScratchSize: 0
; MemoryBound: 0
; FloatMode: 240
; IeeeMode: 1
; LDSByteSize: 0 bytes/workgroup (compile time only)
; SGPRBlocks: 0
; VGPRBlocks: 0
; NumSGPRsForWavesPerEU: 6
; NumVGPRsForWavesPerEU: 4
; Occupancy: 16
; WaveLimiterHint : 0
; COMPUTE_PGM_RSRC2:SCRATCH_EN: 0
; COMPUTE_PGM_RSRC2:USER_SGPR: 2
; COMPUTE_PGM_RSRC2:TRAP_HANDLER: 0
; COMPUTE_PGM_RSRC2:TGID_X_EN: 1
; COMPUTE_PGM_RSRC2:TGID_Y_EN: 0
; COMPUTE_PGM_RSRC2:TGID_Z_EN: 0
; COMPUTE_PGM_RSRC2:TIDIG_COMP_CNT: 0
	.section	.text._Z19cvt_float_fp8_floatIdLb1EEvPT_m,"axG",@progbits,_Z19cvt_float_fp8_floatIdLb1EEvPT_m,comdat
	.protected	_Z19cvt_float_fp8_floatIdLb1EEvPT_m ; -- Begin function _Z19cvt_float_fp8_floatIdLb1EEvPT_m
	.globl	_Z19cvt_float_fp8_floatIdLb1EEvPT_m
	.p2align	8
	.type	_Z19cvt_float_fp8_floatIdLb1EEvPT_m,@function
_Z19cvt_float_fp8_floatIdLb1EEvPT_m:    ; @_Z19cvt_float_fp8_floatIdLb1EEvPT_m
; %bb.0:
	s_load_b128 s[4:7], s[0:1], 0x0
	v_mov_b32_e32 v1, 0
	s_mov_b32 s0, exec_lo
	s_wait_kmcnt 0x0
	s_delay_alu instid0(VALU_DEP_1)
	v_cmpx_gt_u64_e64 s[6:7], v[0:1]
	s_cbranch_execz .LBB2_26
; %bb.1:
	v_lshlrev_b32_e32 v6, 3, v0
	s_mov_b32 s0, 0
	s_mov_b32 s1, 0x7ff00000
	v_mov_b32_e32 v4, v1
	global_load_b64 v[2:3], v6, s[4:5]
	s_wait_loadcnt 0x0
	v_and_b32_e32 v5, 0x7ff00000, v3
	s_delay_alu instid0(VALU_DEP_1)
	v_cmp_ne_u64_e32 vcc_lo, s[0:1], v[4:5]
	v_lshrrev_b32_e32 v4, 24, v3
	s_and_saveexec_b32 s0, vcc_lo
	s_wait_alu 0xfffe
	s_xor_b32 s2, exec_lo, s0
	s_cbranch_execz .LBB2_17
; %bb.2:
	v_dual_mov_b32 v0, v2 :: v_dual_and_b32 v1, 0x7fffffff, v3
	s_mov_b32 s0, 1
	s_mov_b32 s1, 0x407c0000
	v_and_b32_e32 v7, 0x80, v4
                                        ; implicit-def: $vgpr4
	s_wait_alu 0xfffe
	v_cmp_gt_u64_e32 vcc_lo, s[0:1], v[0:1]
	s_and_saveexec_b32 s0, vcc_lo
	s_wait_alu 0xfffe
	s_xor_b32 s3, exec_lo, s0
	s_cbranch_execz .LBB2_14
; %bb.3:
	v_mov_b32_e32 v4, 0
	s_mov_b32 s6, exec_lo
	v_cmpx_ne_u64_e32 0, v[2:3]
	s_cbranch_execz .LBB2_13
; %bb.4:
	v_bfe_u32 v12, v3, 20, 11
	v_and_b32_e32 v0, 0xfffff, v3
	s_delay_alu instid0(VALU_DEP_2) | instskip(SKIP_1) | instid1(VALU_DEP_3)
	v_sub_nc_u32_e64 v1, 0x3f9, v12 clamp
	v_cmp_eq_u32_e32 vcc_lo, 0, v12
	v_or_b32_e32 v3, 0x100000, v0
	s_delay_alu instid0(VALU_DEP_3) | instskip(NEXT) | instid1(VALU_DEP_1)
	v_cndmask_b32_e64 v13, v1, 0x3f8, vcc_lo
	v_dual_cndmask_b32 v3, v3, v0 :: v_dual_add_nc_u32 v4, 49, v13
	v_add_nc_u32_e32 v5, 48, v13
	s_delay_alu instid0(VALU_DEP_2) | instskip(NEXT) | instid1(VALU_DEP_3)
	v_lshrrev_b64 v[0:1], v13, v[2:3]
	v_lshlrev_b64_e64 v[8:9], v4, -1
	v_mov_b32_e32 v4, 0
	s_delay_alu instid0(VALU_DEP_4) | instskip(NEXT) | instid1(VALU_DEP_4)
	v_lshlrev_b64_e64 v[10:11], v5, 1
	v_and_b32_e32 v5, 0x20000, v1
	s_delay_alu instid0(VALU_DEP_4) | instskip(SKIP_1) | instid1(VALU_DEP_3)
	v_bfi_b32 v3, v9, 0, v3
	v_bfi_b32 v2, v8, 0, v2
	v_cmp_eq_u64_e64 s0, 0, v[4:5]
	v_lshrrev_b32_e32 v5, 20, v1
	s_delay_alu instid0(VALU_DEP_3) | instskip(SKIP_1) | instid1(VALU_DEP_1)
	v_cmp_eq_u64_e64 s1, v[2:3], v[10:11]
	v_add_nc_u32_e32 v2, 0xfffffc08, v12
	v_cndmask_b32_e64 v2, v2, 0xfffffc09, vcc_lo
	s_and_b32 s0, s0, s1
	s_wait_alu 0xfffe
	v_cndmask_b32_e64 v3, 0, 1, s0
	s_mov_b32 s0, exec_lo
	s_delay_alu instid0(VALU_DEP_1) | instskip(SKIP_3) | instid1(VALU_DEP_3)
	v_sub_co_u32 v9, vcc_lo, v0, v3
	s_wait_alu 0xfffd
	v_subrev_co_ci_u32_e64 v8, null, 0, v1, vcc_lo
	v_add3_u32 v3, v2, v13, v5
	v_add_co_u32 v0, vcc_lo, v9, v0
	s_delay_alu instid0(VALU_DEP_3) | instskip(NEXT) | instid1(VALU_DEP_3)
	v_and_b32_e32 v2, 0x1ffff, v8
	v_add_nc_u32_e32 v8, -1, v3
	s_wait_alu 0xfffd
	s_delay_alu instid0(VALU_DEP_2) | instskip(NEXT) | instid1(VALU_DEP_2)
	v_add_co_ci_u32_e64 v1, null, v2, v1, vcc_lo
                                        ; implicit-def: $vgpr2
	v_cmpx_ne_u32_e32 0, v8
	s_wait_alu 0xfffe
	s_xor_b32 s0, exec_lo, s0
; %bb.5:
	s_delay_alu instid0(VALU_DEP_2) | instskip(SKIP_1) | instid1(VALU_DEP_2)
	v_and_b32_e32 v5, 0x200000, v1
	v_bfe_u32 v2, v1, 21, 1
	v_cmp_eq_u64_e32 vcc_lo, 0, v[4:5]
	s_delay_alu instid0(VALU_DEP_2)
	v_lshrrev_b64 v[0:1], v2, v[0:1]
	s_wait_alu 0xfffd
	v_cndmask_b32_e32 v2, v3, v8, vcc_lo
; %bb.6:
	s_wait_alu 0xfffe
	s_and_not1_saveexec_b32 s0, s0
; %bb.7:
	s_delay_alu instid0(VALU_DEP_2)
	v_bfe_u32 v2, v1, 20, 1
; %bb.8:
	s_wait_alu 0xfffe
	s_or_b32 exec_lo, exec_lo, s0
	v_lshrrev_b32_e32 v0, 17, v1
	s_delay_alu instid0(VALU_DEP_2) | instskip(SKIP_2) | instid1(VALU_DEP_3)
	v_cmp_gt_i32_e32 vcc_lo, 16, v2
	v_cmp_ne_u32_e64 s0, 0, v2
                                        ; implicit-def: $vgpr4
	s_wait_alu 0xfffd
	v_dual_mov_b32 v1, 0 :: v_dual_cndmask_b32 v0, 7, v0
	s_delay_alu instid0(VALU_DEP_1)
	v_cmp_ne_u64_e32 vcc_lo, 0, v[0:1]
	s_or_b32 s0, s0, vcc_lo
	s_wait_alu 0xfffe
	s_and_saveexec_b32 s1, s0
	s_wait_alu 0xfffe
	s_xor_b32 s0, exec_lo, s1
; %bb.9:
	v_min_i32_e32 v1, 15, v2
	s_delay_alu instid0(VALU_DEP_1) | instskip(NEXT) | instid1(VALU_DEP_1)
	v_lshl_or_b32 v1, v1, 3, v7
                                        ; implicit-def: $vgpr7
	v_and_or_b32 v4, v0, 7, v1
; %bb.10:
	s_wait_alu 0xfffe
	s_and_not1_saveexec_b32 s0, s0
; %bb.11:
	v_mov_b32_e32 v4, v7
; %bb.12:
	s_wait_alu 0xfffe
	s_or_b32 exec_lo, exec_lo, s0
.LBB2_13:
	s_wait_alu 0xfffe
	s_or_b32 exec_lo, exec_lo, s6
                                        ; implicit-def: $vgpr7
.LBB2_14:
	s_and_not1_saveexec_b32 s0, s3
; %bb.15:
	v_or_b32_e32 v4, 0x7e, v7
; %bb.16:
	s_wait_alu 0xfffe
	s_or_b32 exec_lo, exec_lo, s0
.LBB2_17:
	s_or_saveexec_b32 s0, s2
	v_add_co_u32 v0, s1, s4, v6
	s_wait_alu 0xf1ff
	v_add_co_ci_u32_e64 v1, null, s5, 0, s1
	s_wait_alu 0xfffe
	s_xor_b32 exec_lo, exec_lo, s0
	s_delay_alu instid0(SALU_CYCLE_1) | instskip(SKIP_3) | instid1(VALU_DEP_2)
	s_or_b32 exec_lo, exec_lo, s0
	v_dual_mov_b32 v2, 0 :: v_dual_and_b32 v5, 0xff, v4
	v_mov_b32_e32 v3, 0
	s_mov_b32 s0, exec_lo
	v_cmpx_ne_u16_e32 0, v5
	s_cbranch_execz .LBB2_25
; %bb.18:
	v_mov_b32_e32 v2, 0
	v_bfrev_b32_e32 v3, 1
	s_mov_b32 s1, exec_lo
	v_cmpx_ne_u16_e32 0x80, v5
	s_cbranch_execz .LBB2_24
; %bb.19:
	v_and_b32_e32 v6, 0x7f, v4
	v_dual_mov_b32 v2, 1 :: v_dual_mov_b32 v3, 0x7ff00000
	s_mov_b32 s2, exec_lo
	s_delay_alu instid0(VALU_DEP_2)
	v_cmpx_ne_u32_e32 0x7f, v6
	s_cbranch_execz .LBB2_23
; %bb.20:
	v_dual_mov_b32 v3, 0 :: v_dual_and_b32 v2, 7, v5
	v_lshrrev_b32_e32 v4, 3, v6
	s_mov_b32 s3, exec_lo
	v_cmpx_gt_u32_e32 8, v6
; %bb.21:
	s_delay_alu instid0(VALU_DEP_3) | instskip(NEXT) | instid1(VALU_DEP_1)
	v_clz_i32_u32_e32 v4, v2
	v_min_u32_e32 v4, 32, v4
	s_delay_alu instid0(VALU_DEP_1) | instskip(SKIP_1) | instid1(VALU_DEP_2)
	v_subrev_nc_u32_e32 v6, 28, v4
	v_sub_nc_u32_e32 v4, 29, v4
	v_lshlrev_b64_e32 v[2:3], v6, v[2:3]
	s_delay_alu instid0(VALU_DEP_1)
	v_and_b32_e32 v2, 7, v2
; %bb.22:
	s_or_b32 exec_lo, exec_lo, s3
	v_lshlrev_b32_e32 v3, 24, v5
	s_delay_alu instid0(VALU_DEP_2) | instskip(SKIP_1) | instid1(VALU_DEP_3)
	v_lshlrev_b32_e32 v2, 17, v2
	v_lshl_add_u32 v4, v4, 20, 1.0
	v_and_b32_e32 v3, 0x80000000, v3
	s_delay_alu instid0(VALU_DEP_1)
	v_or3_b32 v3, v4, v3, v2
	v_or3_b32 v2, 0, 0, 0
.LBB2_23:
	s_or_b32 exec_lo, exec_lo, s2
.LBB2_24:
	s_wait_alu 0xfffe
	s_or_b32 exec_lo, exec_lo, s1
.LBB2_25:
	s_wait_alu 0xfffe
	s_or_b32 exec_lo, exec_lo, s0
	global_store_b64 v[0:1], v[2:3], off
.LBB2_26:
	s_endpgm
	.section	.rodata,"a",@progbits
	.p2align	6, 0x0
	.amdhsa_kernel _Z19cvt_float_fp8_floatIdLb1EEvPT_m
		.amdhsa_group_segment_fixed_size 0
		.amdhsa_private_segment_fixed_size 0
		.amdhsa_kernarg_size 16
		.amdhsa_user_sgpr_count 2
		.amdhsa_user_sgpr_dispatch_ptr 0
		.amdhsa_user_sgpr_queue_ptr 0
		.amdhsa_user_sgpr_kernarg_segment_ptr 1
		.amdhsa_user_sgpr_dispatch_id 0
		.amdhsa_user_sgpr_private_segment_size 0
		.amdhsa_wavefront_size32 1
		.amdhsa_uses_dynamic_stack 0
		.amdhsa_enable_private_segment 0
		.amdhsa_system_sgpr_workgroup_id_x 1
		.amdhsa_system_sgpr_workgroup_id_y 0
		.amdhsa_system_sgpr_workgroup_id_z 0
		.amdhsa_system_sgpr_workgroup_info 0
		.amdhsa_system_vgpr_workitem_id 0
		.amdhsa_next_free_vgpr 14
		.amdhsa_next_free_sgpr 8
		.amdhsa_reserve_vcc 1
		.amdhsa_float_round_mode_32 0
		.amdhsa_float_round_mode_16_64 0
		.amdhsa_float_denorm_mode_32 3
		.amdhsa_float_denorm_mode_16_64 3
		.amdhsa_fp16_overflow 0
		.amdhsa_workgroup_processor_mode 1
		.amdhsa_memory_ordered 1
		.amdhsa_forward_progress 1
		.amdhsa_inst_pref_size 8
		.amdhsa_round_robin_scheduling 0
		.amdhsa_exception_fp_ieee_invalid_op 0
		.amdhsa_exception_fp_denorm_src 0
		.amdhsa_exception_fp_ieee_div_zero 0
		.amdhsa_exception_fp_ieee_overflow 0
		.amdhsa_exception_fp_ieee_underflow 0
		.amdhsa_exception_fp_ieee_inexact 0
		.amdhsa_exception_int_div_zero 0
	.end_amdhsa_kernel
	.section	.text._Z19cvt_float_fp8_floatIdLb1EEvPT_m,"axG",@progbits,_Z19cvt_float_fp8_floatIdLb1EEvPT_m,comdat
.Lfunc_end2:
	.size	_Z19cvt_float_fp8_floatIdLb1EEvPT_m, .Lfunc_end2-_Z19cvt_float_fp8_floatIdLb1EEvPT_m
                                        ; -- End function
	.set _Z19cvt_float_fp8_floatIdLb1EEvPT_m.num_vgpr, 14
	.set _Z19cvt_float_fp8_floatIdLb1EEvPT_m.num_agpr, 0
	.set _Z19cvt_float_fp8_floatIdLb1EEvPT_m.numbered_sgpr, 8
	.set _Z19cvt_float_fp8_floatIdLb1EEvPT_m.num_named_barrier, 0
	.set _Z19cvt_float_fp8_floatIdLb1EEvPT_m.private_seg_size, 0
	.set _Z19cvt_float_fp8_floatIdLb1EEvPT_m.uses_vcc, 1
	.set _Z19cvt_float_fp8_floatIdLb1EEvPT_m.uses_flat_scratch, 0
	.set _Z19cvt_float_fp8_floatIdLb1EEvPT_m.has_dyn_sized_stack, 0
	.set _Z19cvt_float_fp8_floatIdLb1EEvPT_m.has_recursion, 0
	.set _Z19cvt_float_fp8_floatIdLb1EEvPT_m.has_indirect_call, 0
	.section	.AMDGPU.csdata,"",@progbits
; Kernel info:
; codeLenInByte = 944
; TotalNumSgprs: 10
; NumVgprs: 14
; ScratchSize: 0
; MemoryBound: 0
; FloatMode: 240
; IeeeMode: 1
; LDSByteSize: 0 bytes/workgroup (compile time only)
; SGPRBlocks: 0
; VGPRBlocks: 1
; NumSGPRsForWavesPerEU: 10
; NumVGPRsForWavesPerEU: 14
; Occupancy: 16
; WaveLimiterHint : 0
; COMPUTE_PGM_RSRC2:SCRATCH_EN: 0
; COMPUTE_PGM_RSRC2:USER_SGPR: 2
; COMPUTE_PGM_RSRC2:TRAP_HANDLER: 0
; COMPUTE_PGM_RSRC2:TGID_X_EN: 1
; COMPUTE_PGM_RSRC2:TGID_Y_EN: 0
; COMPUTE_PGM_RSRC2:TGID_Z_EN: 0
; COMPUTE_PGM_RSRC2:TIDIG_COMP_CNT: 0
	.section	.text._Z19cvt_float_fp8_floatIdLb0EEvPT_m,"axG",@progbits,_Z19cvt_float_fp8_floatIdLb0EEvPT_m,comdat
	.protected	_Z19cvt_float_fp8_floatIdLb0EEvPT_m ; -- Begin function _Z19cvt_float_fp8_floatIdLb0EEvPT_m
	.globl	_Z19cvt_float_fp8_floatIdLb0EEvPT_m
	.p2align	8
	.type	_Z19cvt_float_fp8_floatIdLb0EEvPT_m,@function
_Z19cvt_float_fp8_floatIdLb0EEvPT_m:    ; @_Z19cvt_float_fp8_floatIdLb0EEvPT_m
; %bb.0:
	s_load_b128 s[4:7], s[0:1], 0x0
	v_mov_b32_e32 v1, 0
	s_mov_b32 s0, exec_lo
	s_wait_kmcnt 0x0
	s_delay_alu instid0(VALU_DEP_1)
	v_cmpx_gt_u64_e64 s[6:7], v[0:1]
	s_cbranch_execz .LBB3_34
; %bb.1:
	v_dual_mov_b32 v7, v1 :: v_dual_lshlrev_b32 v6, 3, v0
	s_mov_b32 s0, 0
	s_mov_b32 s1, 0x7ff00000
	global_load_b64 v[2:3], v6, s[4:5]
	s_wait_loadcnt 0x0
	v_and_b32_e32 v8, 0x7ff00000, v3
	v_dual_mov_b32 v4, v2 :: v_dual_and_b32 v5, 0xfffff, v3
	s_delay_alu instid0(VALU_DEP_2)
	v_cmp_ne_u64_e32 vcc_lo, s[0:1], v[7:8]
                                        ; implicit-def: $vgpr7
	s_and_saveexec_b32 s0, vcc_lo
	s_wait_alu 0xfffe
	s_xor_b32 s2, exec_lo, s0
	s_cbranch_execz .LBB3_17
; %bb.2:
	v_dual_mov_b32 v0, v2 :: v_dual_and_b32 v1, 0x7fffffff, v3
	v_lshrrev_b32_e32 v7, 24, v3
	s_mov_b32 s0, 1
	s_mov_b32 s1, 0x40ec0000
	s_wait_alu 0xfffe
	v_cmp_gt_u64_e32 vcc_lo, s[0:1], v[0:1]
	v_and_b32_e32 v8, 0x80, v7
                                        ; implicit-def: $vgpr7
	s_and_saveexec_b32 s0, vcc_lo
	s_wait_alu 0xfffe
	s_xor_b32 s3, exec_lo, s0
	s_cbranch_execz .LBB3_14
; %bb.3:
	v_mov_b32_e32 v7, 0
	s_mov_b32 s6, exec_lo
	v_cmpx_ne_u64_e32 0, v[2:3]
	s_cbranch_execz .LBB3_13
; %bb.4:
	v_bfe_u32 v7, v3, 20, 11
	v_or_b32_e32 v1, 0x100000, v5
	s_delay_alu instid0(VALU_DEP_2) | instskip(SKIP_1) | instid1(VALU_DEP_2)
	v_sub_nc_u32_e64 v0, 0x3f1, v7 clamp
	v_cmp_eq_u32_e32 vcc_lo, 0, v7
	v_cndmask_b32_e64 v13, v0, 0x3f0, vcc_lo
	s_delay_alu instid0(VALU_DEP_4) | instskip(NEXT) | instid1(VALU_DEP_2)
	v_cndmask_b32_e32 v5, v1, v5, vcc_lo
	v_add_nc_u32_e32 v2, 50, v13
	v_add_nc_u32_e32 v3, 49, v13
	s_delay_alu instid0(VALU_DEP_2) | instskip(SKIP_2) | instid1(VALU_DEP_4)
	v_lshlrev_b64_e64 v[9:10], v2, -1
	v_mov_b32_e32 v2, 0
	v_lshrrev_b64 v[0:1], v13, v[4:5]
	v_lshlrev_b64_e64 v[11:12], v3, 1
	s_delay_alu instid0(VALU_DEP_4) | instskip(SKIP_1) | instid1(VALU_DEP_4)
	v_bfi_b32 v5, v10, 0, v5
	v_bfi_b32 v4, v9, 0, v4
	v_and_b32_e32 v3, 0x40000, v1
	s_delay_alu instid0(VALU_DEP_2) | instskip(NEXT) | instid1(VALU_DEP_2)
	v_cmp_eq_u64_e64 s1, v[4:5], v[11:12]
	v_cmp_eq_u64_e64 s0, 0, v[2:3]
	v_add_nc_u32_e32 v3, 0xfffffc10, v7
	v_lshrrev_b32_e32 v5, 20, v1
	s_and_b32 s0, s0, s1
	s_delay_alu instid0(VALU_DEP_2) | instskip(SKIP_3) | instid1(VALU_DEP_1)
	v_cndmask_b32_e64 v3, v3, 0xfffffc11, vcc_lo
	s_wait_alu 0xfffe
	v_cndmask_b32_e64 v4, 0, 1, s0
	s_mov_b32 s0, exec_lo
	v_sub_co_u32 v7, vcc_lo, v0, v4
	s_wait_alu 0xfffd
	v_subrev_co_ci_u32_e64 v9, null, 0, v1, vcc_lo
	v_add3_u32 v4, v3, v13, v5
	s_delay_alu instid0(VALU_DEP_3) | instskip(NEXT) | instid1(VALU_DEP_3)
	v_add_co_u32 v0, vcc_lo, v7, v0
	v_and_b32_e32 v3, 0x3ffff, v9
	s_delay_alu instid0(VALU_DEP_3) | instskip(SKIP_1) | instid1(VALU_DEP_2)
	v_add_nc_u32_e32 v5, -1, v4
	s_wait_alu 0xfffd
	v_add_co_ci_u32_e64 v1, null, v3, v1, vcc_lo
                                        ; implicit-def: $vgpr3
	s_delay_alu instid0(VALU_DEP_2)
	v_cmpx_ne_u32_e32 0, v5
	s_wait_alu 0xfffe
	s_xor_b32 s0, exec_lo, s0
; %bb.5:
	s_delay_alu instid0(VALU_DEP_2) | instskip(SKIP_1) | instid1(VALU_DEP_2)
	v_and_b32_e32 v3, 0x200000, v1
	v_bfe_u32 v7, v1, 21, 1
	v_cmp_eq_u64_e32 vcc_lo, 0, v[2:3]
	s_delay_alu instid0(VALU_DEP_2)
	v_lshrrev_b64 v[0:1], v7, v[0:1]
	s_wait_alu 0xfffd
	v_cndmask_b32_e32 v3, v4, v5, vcc_lo
; %bb.6:
	s_wait_alu 0xfffe
	s_and_not1_saveexec_b32 s0, s0
; %bb.7:
	s_delay_alu instid0(VALU_DEP_2)
	v_bfe_u32 v3, v1, 20, 1
; %bb.8:
	s_wait_alu 0xfffe
	s_or_b32 exec_lo, exec_lo, s0
	v_lshrrev_b32_e32 v0, 18, v1
	s_delay_alu instid0(VALU_DEP_2) | instskip(SKIP_2) | instid1(VALU_DEP_3)
	v_cmp_gt_i32_e32 vcc_lo, 32, v3
	v_cmp_ne_u32_e64 s0, 0, v3
                                        ; implicit-def: $vgpr7
	s_wait_alu 0xfffd
	v_dual_mov_b32 v1, 0 :: v_dual_cndmask_b32 v0, 3, v0
	s_delay_alu instid0(VALU_DEP_1)
	v_cmp_ne_u64_e32 vcc_lo, 0, v[0:1]
	s_or_b32 s0, s0, vcc_lo
	s_wait_alu 0xfffe
	s_and_saveexec_b32 s1, s0
	s_wait_alu 0xfffe
	s_xor_b32 s0, exec_lo, s1
; %bb.9:
	v_min_i32_e32 v1, 31, v3
	s_delay_alu instid0(VALU_DEP_1) | instskip(NEXT) | instid1(VALU_DEP_1)
	v_lshl_or_b32 v1, v1, 2, v8
                                        ; implicit-def: $vgpr8
	v_and_or_b32 v7, v0, 3, v1
; %bb.10:
	s_wait_alu 0xfffe
	s_and_not1_saveexec_b32 s0, s0
; %bb.11:
	v_mov_b32_e32 v7, v8
; %bb.12:
	s_wait_alu 0xfffe
	s_or_b32 exec_lo, exec_lo, s0
.LBB3_13:
	s_wait_alu 0xfffe
	s_or_b32 exec_lo, exec_lo, s6
                                        ; implicit-def: $vgpr8
.LBB3_14:
	s_and_not1_saveexec_b32 s0, s3
; %bb.15:
	v_or_b32_e32 v7, 0x7b, v8
; %bb.16:
	s_wait_alu 0xfffe
	s_or_b32 exec_lo, exec_lo, s0
                                        ; implicit-def: $vgpr2_vgpr3
                                        ; implicit-def: $vgpr4_vgpr5
.LBB3_17:
	s_or_saveexec_b32 s0, s2
	v_add_co_u32 v0, s1, s4, v6
	s_wait_alu 0xf1ff
	v_add_co_ci_u32_e64 v1, null, s5, 0, s1
	s_wait_alu 0xfffe
	s_xor_b32 exec_lo, exec_lo, s0
	s_cbranch_execz .LBB3_23
; %bb.18:
	s_mov_b32 s1, exec_lo
                                        ; implicit-def: $vgpr7
	v_cmpx_ne_u64_e32 0, v[4:5]
	s_wait_alu 0xfffe
	s_xor_b32 s1, exec_lo, s1
; %bb.19:
	v_lshrrev_b32_e32 v7, 24, v3
                                        ; implicit-def: $vgpr2_vgpr3
; %bb.20:
	s_wait_alu 0xfffe
	s_and_not1_saveexec_b32 s1, s1
; %bb.21:
	v_cmp_lt_i64_e32 vcc_lo, -1, v[2:3]
	s_wait_alu 0xfffd
	v_cndmask_b32_e64 v7, -4, 0x7c, vcc_lo
; %bb.22:
	s_wait_alu 0xfffe
	s_or_b32 exec_lo, exec_lo, s1
.LBB3_23:
	s_delay_alu instid0(SALU_CYCLE_1) | instskip(SKIP_3) | instid1(VALU_DEP_1)
	s_or_b32 exec_lo, exec_lo, s0
	v_mov_b32_e32 v2, 0
	v_dual_mov_b32 v3, 0 :: v_dual_and_b32 v6, 0xff, v7
	s_mov_b32 s0, exec_lo
	v_cmpx_ne_u16_e32 0, v6
	s_cbranch_execz .LBB3_33
; %bb.24:
	v_mov_b32_e32 v2, 0
	v_bfrev_b32_e32 v3, 1
	s_mov_b32 s1, exec_lo
	v_cmpx_ne_u16_e32 0x80, v6
	s_cbranch_execz .LBB3_32
; %bb.25:
	v_dual_mov_b32 v5, 0 :: v_dual_and_b32 v2, 0x7c, v7
	v_and_b32_e32 v4, 3, v7
	s_delay_alu instid0(VALU_DEP_2) | instskip(SKIP_1) | instid1(SALU_CYCLE_1)
	v_cmp_ne_u32_e32 vcc_lo, 0x7c, v2
                                        ; implicit-def: $vgpr2_vgpr3
	s_and_saveexec_b32 s2, vcc_lo
	s_xor_b32 s2, exec_lo, s2
	s_cbranch_execz .LBB3_29
; %bb.26:
	v_bfe_u32 v2, v6, 2, 5
	s_mov_b32 s3, exec_lo
	s_delay_alu instid0(VALU_DEP_1)
	v_cmpx_eq_u32_e32 0, v2
; %bb.27:
	v_clz_i32_u32_e32 v2, v4
	s_delay_alu instid0(VALU_DEP_1) | instskip(NEXT) | instid1(VALU_DEP_1)
	v_min_u32_e32 v2, 32, v2
	v_subrev_nc_u32_e32 v3, 29, v2
	v_sub_nc_u32_e32 v2, 30, v2
	s_delay_alu instid0(VALU_DEP_2) | instskip(NEXT) | instid1(VALU_DEP_1)
	v_lshlrev_b64_e32 v[3:4], v3, v[4:5]
	v_and_b32_e32 v4, 3, v3
; %bb.28:
	s_or_b32 exec_lo, exec_lo, s3
	v_lshlrev_b32_e32 v3, 24, v6
	s_delay_alu instid0(VALU_DEP_2) | instskip(SKIP_1) | instid1(VALU_DEP_3)
	v_lshlrev_b32_e32 v4, 18, v4
	v_lshl_add_u32 v2, v2, 20, 0.5
                                        ; implicit-def: $vgpr7
	v_and_b32_e32 v3, 0x80000000, v3
	s_delay_alu instid0(VALU_DEP_1)
	v_or3_b32 v3, v2, v3, v4
	v_or3_b32 v2, 0, 0, 0
                                        ; implicit-def: $vgpr4_vgpr5
.LBB3_29:
	s_and_not1_saveexec_b32 s2, s2
	s_cbranch_execz .LBB3_31
; %bb.30:
	v_bfe_i32 v2, v7, 0, 8
	v_mov_b32_e32 v3, 0x40ec0000
	s_delay_alu instid0(VALU_DEP_2) | instskip(SKIP_1) | instid1(VALU_DEP_2)
	v_cmp_lt_i16_e32 vcc_lo, -1, v2
	s_wait_alu 0xfffd
	v_cndmask_b32_e32 v2, 0xc0ec0000, v3, vcc_lo
	v_cmp_eq_u32_e32 vcc_lo, 0, v4
	s_wait_alu 0xfffd
	s_delay_alu instid0(VALU_DEP_2)
	v_cndmask_b32_e32 v3, 0x7ff00000, v2, vcc_lo
	v_cmp_ne_u32_e32 vcc_lo, 0, v4
	s_wait_alu 0xfffd
	v_cndmask_b32_e64 v2, 0, 1, vcc_lo
.LBB3_31:
	s_or_b32 exec_lo, exec_lo, s2
.LBB3_32:
	s_wait_alu 0xfffe
	s_or_b32 exec_lo, exec_lo, s1
.LBB3_33:
	s_wait_alu 0xfffe
	s_or_b32 exec_lo, exec_lo, s0
	global_store_b64 v[0:1], v[2:3], off
.LBB3_34:
	s_endpgm
	.section	.rodata,"a",@progbits
	.p2align	6, 0x0
	.amdhsa_kernel _Z19cvt_float_fp8_floatIdLb0EEvPT_m
		.amdhsa_group_segment_fixed_size 0
		.amdhsa_private_segment_fixed_size 0
		.amdhsa_kernarg_size 16
		.amdhsa_user_sgpr_count 2
		.amdhsa_user_sgpr_dispatch_ptr 0
		.amdhsa_user_sgpr_queue_ptr 0
		.amdhsa_user_sgpr_kernarg_segment_ptr 1
		.amdhsa_user_sgpr_dispatch_id 0
		.amdhsa_user_sgpr_private_segment_size 0
		.amdhsa_wavefront_size32 1
		.amdhsa_uses_dynamic_stack 0
		.amdhsa_enable_private_segment 0
		.amdhsa_system_sgpr_workgroup_id_x 1
		.amdhsa_system_sgpr_workgroup_id_y 0
		.amdhsa_system_sgpr_workgroup_id_z 0
		.amdhsa_system_sgpr_workgroup_info 0
		.amdhsa_system_vgpr_workitem_id 0
		.amdhsa_next_free_vgpr 14
		.amdhsa_next_free_sgpr 8
		.amdhsa_reserve_vcc 1
		.amdhsa_float_round_mode_32 0
		.amdhsa_float_round_mode_16_64 0
		.amdhsa_float_denorm_mode_32 3
		.amdhsa_float_denorm_mode_16_64 3
		.amdhsa_fp16_overflow 0
		.amdhsa_workgroup_processor_mode 1
		.amdhsa_memory_ordered 1
		.amdhsa_forward_progress 1
		.amdhsa_inst_pref_size 9
		.amdhsa_round_robin_scheduling 0
		.amdhsa_exception_fp_ieee_invalid_op 0
		.amdhsa_exception_fp_denorm_src 0
		.amdhsa_exception_fp_ieee_div_zero 0
		.amdhsa_exception_fp_ieee_overflow 0
		.amdhsa_exception_fp_ieee_underflow 0
		.amdhsa_exception_fp_ieee_inexact 0
		.amdhsa_exception_int_div_zero 0
	.end_amdhsa_kernel
	.section	.text._Z19cvt_float_fp8_floatIdLb0EEvPT_m,"axG",@progbits,_Z19cvt_float_fp8_floatIdLb0EEvPT_m,comdat
.Lfunc_end3:
	.size	_Z19cvt_float_fp8_floatIdLb0EEvPT_m, .Lfunc_end3-_Z19cvt_float_fp8_floatIdLb0EEvPT_m
                                        ; -- End function
	.set _Z19cvt_float_fp8_floatIdLb0EEvPT_m.num_vgpr, 14
	.set _Z19cvt_float_fp8_floatIdLb0EEvPT_m.num_agpr, 0
	.set _Z19cvt_float_fp8_floatIdLb0EEvPT_m.numbered_sgpr, 8
	.set _Z19cvt_float_fp8_floatIdLb0EEvPT_m.num_named_barrier, 0
	.set _Z19cvt_float_fp8_floatIdLb0EEvPT_m.private_seg_size, 0
	.set _Z19cvt_float_fp8_floatIdLb0EEvPT_m.uses_vcc, 1
	.set _Z19cvt_float_fp8_floatIdLb0EEvPT_m.uses_flat_scratch, 0
	.set _Z19cvt_float_fp8_floatIdLb0EEvPT_m.has_dyn_sized_stack, 0
	.set _Z19cvt_float_fp8_floatIdLb0EEvPT_m.has_recursion, 0
	.set _Z19cvt_float_fp8_floatIdLb0EEvPT_m.has_indirect_call, 0
	.section	.AMDGPU.csdata,"",@progbits
; Kernel info:
; codeLenInByte = 1084
; TotalNumSgprs: 10
; NumVgprs: 14
; ScratchSize: 0
; MemoryBound: 0
; FloatMode: 240
; IeeeMode: 1
; LDSByteSize: 0 bytes/workgroup (compile time only)
; SGPRBlocks: 0
; VGPRBlocks: 1
; NumSGPRsForWavesPerEU: 10
; NumVGPRsForWavesPerEU: 14
; Occupancy: 16
; WaveLimiterHint : 0
; COMPUTE_PGM_RSRC2:SCRATCH_EN: 0
; COMPUTE_PGM_RSRC2:USER_SGPR: 2
; COMPUTE_PGM_RSRC2:TRAP_HANDLER: 0
; COMPUTE_PGM_RSRC2:TGID_X_EN: 1
; COMPUTE_PGM_RSRC2:TGID_Y_EN: 0
; COMPUTE_PGM_RSRC2:TGID_Z_EN: 0
; COMPUTE_PGM_RSRC2:TIDIG_COMP_CNT: 0
	.section	.text._Z23cvt_float2_fp8x2_float2ILb1EEvP15HIP_vector_typeIfLj2EEm,"axG",@progbits,_Z23cvt_float2_fp8x2_float2ILb1EEvP15HIP_vector_typeIfLj2EEm,comdat
	.protected	_Z23cvt_float2_fp8x2_float2ILb1EEvP15HIP_vector_typeIfLj2EEm ; -- Begin function _Z23cvt_float2_fp8x2_float2ILb1EEvP15HIP_vector_typeIfLj2EEm
	.globl	_Z23cvt_float2_fp8x2_float2ILb1EEvP15HIP_vector_typeIfLj2EEm
	.p2align	8
	.type	_Z23cvt_float2_fp8x2_float2ILb1EEvP15HIP_vector_typeIfLj2EEm,@function
_Z23cvt_float2_fp8x2_float2ILb1EEvP15HIP_vector_typeIfLj2EEm: ; @_Z23cvt_float2_fp8x2_float2ILb1EEvP15HIP_vector_typeIfLj2EEm
; %bb.0:
	s_load_b128 s[0:3], s[0:1], 0x0
	v_mov_b32_e32 v1, 0
	s_wait_kmcnt 0x0
	s_delay_alu instid0(VALU_DEP_1)
	v_cmp_gt_u64_e32 vcc_lo, s[2:3], v[0:1]
	s_and_saveexec_b32 s2, vcc_lo
	s_cbranch_execz .LBB4_2
; %bb.1:
	v_lshlrev_b32_e32 v4, 3, v0
	global_load_b64 v[2:3], v4, s[0:1]
	s_wait_loadcnt 0x0
	v_cvt_pk_fp8_f32 v1, v2, v3
	s_delay_alu instid0(VALU_DEP_1) | instskip(NEXT) | instid1(VALU_DEP_1)
	v_and_b32_e32 v0, 0xffff, v1
	v_cvt_pk_f32_fp8_e32 v[0:1], v0
	global_store_b64 v4, v[0:1], s[0:1]
.LBB4_2:
	s_endpgm
	.section	.rodata,"a",@progbits
	.p2align	6, 0x0
	.amdhsa_kernel _Z23cvt_float2_fp8x2_float2ILb1EEvP15HIP_vector_typeIfLj2EEm
		.amdhsa_group_segment_fixed_size 0
		.amdhsa_private_segment_fixed_size 0
		.amdhsa_kernarg_size 16
		.amdhsa_user_sgpr_count 2
		.amdhsa_user_sgpr_dispatch_ptr 0
		.amdhsa_user_sgpr_queue_ptr 0
		.amdhsa_user_sgpr_kernarg_segment_ptr 1
		.amdhsa_user_sgpr_dispatch_id 0
		.amdhsa_user_sgpr_private_segment_size 0
		.amdhsa_wavefront_size32 1
		.amdhsa_uses_dynamic_stack 0
		.amdhsa_enable_private_segment 0
		.amdhsa_system_sgpr_workgroup_id_x 1
		.amdhsa_system_sgpr_workgroup_id_y 0
		.amdhsa_system_sgpr_workgroup_id_z 0
		.amdhsa_system_sgpr_workgroup_info 0
		.amdhsa_system_vgpr_workitem_id 0
		.amdhsa_next_free_vgpr 5
		.amdhsa_next_free_sgpr 4
		.amdhsa_reserve_vcc 1
		.amdhsa_float_round_mode_32 0
		.amdhsa_float_round_mode_16_64 0
		.amdhsa_float_denorm_mode_32 3
		.amdhsa_float_denorm_mode_16_64 3
		.amdhsa_fp16_overflow 0
		.amdhsa_workgroup_processor_mode 1
		.amdhsa_memory_ordered 1
		.amdhsa_forward_progress 1
		.amdhsa_inst_pref_size 1
		.amdhsa_round_robin_scheduling 0
		.amdhsa_exception_fp_ieee_invalid_op 0
		.amdhsa_exception_fp_denorm_src 0
		.amdhsa_exception_fp_ieee_div_zero 0
		.amdhsa_exception_fp_ieee_overflow 0
		.amdhsa_exception_fp_ieee_underflow 0
		.amdhsa_exception_fp_ieee_inexact 0
		.amdhsa_exception_int_div_zero 0
	.end_amdhsa_kernel
	.section	.text._Z23cvt_float2_fp8x2_float2ILb1EEvP15HIP_vector_typeIfLj2EEm,"axG",@progbits,_Z23cvt_float2_fp8x2_float2ILb1EEvP15HIP_vector_typeIfLj2EEm,comdat
.Lfunc_end4:
	.size	_Z23cvt_float2_fp8x2_float2ILb1EEvP15HIP_vector_typeIfLj2EEm, .Lfunc_end4-_Z23cvt_float2_fp8x2_float2ILb1EEvP15HIP_vector_typeIfLj2EEm
                                        ; -- End function
	.set _Z23cvt_float2_fp8x2_float2ILb1EEvP15HIP_vector_typeIfLj2EEm.num_vgpr, 5
	.set _Z23cvt_float2_fp8x2_float2ILb1EEvP15HIP_vector_typeIfLj2EEm.num_agpr, 0
	.set _Z23cvt_float2_fp8x2_float2ILb1EEvP15HIP_vector_typeIfLj2EEm.numbered_sgpr, 4
	.set _Z23cvt_float2_fp8x2_float2ILb1EEvP15HIP_vector_typeIfLj2EEm.num_named_barrier, 0
	.set _Z23cvt_float2_fp8x2_float2ILb1EEvP15HIP_vector_typeIfLj2EEm.private_seg_size, 0
	.set _Z23cvt_float2_fp8x2_float2ILb1EEvP15HIP_vector_typeIfLj2EEm.uses_vcc, 1
	.set _Z23cvt_float2_fp8x2_float2ILb1EEvP15HIP_vector_typeIfLj2EEm.uses_flat_scratch, 0
	.set _Z23cvt_float2_fp8x2_float2ILb1EEvP15HIP_vector_typeIfLj2EEm.has_dyn_sized_stack, 0
	.set _Z23cvt_float2_fp8x2_float2ILb1EEvP15HIP_vector_typeIfLj2EEm.has_recursion, 0
	.set _Z23cvt_float2_fp8x2_float2ILb1EEvP15HIP_vector_typeIfLj2EEm.has_indirect_call, 0
	.section	.AMDGPU.csdata,"",@progbits
; Kernel info:
; codeLenInByte = 92
; TotalNumSgprs: 6
; NumVgprs: 5
; ScratchSize: 0
; MemoryBound: 0
; FloatMode: 240
; IeeeMode: 1
; LDSByteSize: 0 bytes/workgroup (compile time only)
; SGPRBlocks: 0
; VGPRBlocks: 0
; NumSGPRsForWavesPerEU: 6
; NumVGPRsForWavesPerEU: 5
; Occupancy: 16
; WaveLimiterHint : 0
; COMPUTE_PGM_RSRC2:SCRATCH_EN: 0
; COMPUTE_PGM_RSRC2:USER_SGPR: 2
; COMPUTE_PGM_RSRC2:TRAP_HANDLER: 0
; COMPUTE_PGM_RSRC2:TGID_X_EN: 1
; COMPUTE_PGM_RSRC2:TGID_Y_EN: 0
; COMPUTE_PGM_RSRC2:TGID_Z_EN: 0
; COMPUTE_PGM_RSRC2:TIDIG_COMP_CNT: 0
	.section	.text._Z23cvt_float2_fp8x2_float2ILb0EEvP15HIP_vector_typeIfLj2EEm,"axG",@progbits,_Z23cvt_float2_fp8x2_float2ILb0EEvP15HIP_vector_typeIfLj2EEm,comdat
	.protected	_Z23cvt_float2_fp8x2_float2ILb0EEvP15HIP_vector_typeIfLj2EEm ; -- Begin function _Z23cvt_float2_fp8x2_float2ILb0EEvP15HIP_vector_typeIfLj2EEm
	.globl	_Z23cvt_float2_fp8x2_float2ILb0EEvP15HIP_vector_typeIfLj2EEm
	.p2align	8
	.type	_Z23cvt_float2_fp8x2_float2ILb0EEvP15HIP_vector_typeIfLj2EEm,@function
_Z23cvt_float2_fp8x2_float2ILb0EEvP15HIP_vector_typeIfLj2EEm: ; @_Z23cvt_float2_fp8x2_float2ILb0EEvP15HIP_vector_typeIfLj2EEm
; %bb.0:
	s_load_b128 s[0:3], s[0:1], 0x0
	v_mov_b32_e32 v1, 0
	s_wait_kmcnt 0x0
	s_delay_alu instid0(VALU_DEP_1)
	v_cmp_gt_u64_e32 vcc_lo, s[2:3], v[0:1]
	s_and_saveexec_b32 s2, vcc_lo
	s_cbranch_execz .LBB5_2
; %bb.1:
	v_lshlrev_b32_e32 v4, 3, v0
	global_load_b64 v[2:3], v4, s[0:1]
	s_wait_loadcnt 0x0
	v_cvt_pk_bf8_f32 v1, v2, v3
	s_delay_alu instid0(VALU_DEP_1) | instskip(NEXT) | instid1(VALU_DEP_1)
	v_and_b32_e32 v0, 0xffff, v1
	v_cvt_pk_f32_bf8_e32 v[0:1], v0
	global_store_b64 v4, v[0:1], s[0:1]
.LBB5_2:
	s_endpgm
	.section	.rodata,"a",@progbits
	.p2align	6, 0x0
	.amdhsa_kernel _Z23cvt_float2_fp8x2_float2ILb0EEvP15HIP_vector_typeIfLj2EEm
		.amdhsa_group_segment_fixed_size 0
		.amdhsa_private_segment_fixed_size 0
		.amdhsa_kernarg_size 16
		.amdhsa_user_sgpr_count 2
		.amdhsa_user_sgpr_dispatch_ptr 0
		.amdhsa_user_sgpr_queue_ptr 0
		.amdhsa_user_sgpr_kernarg_segment_ptr 1
		.amdhsa_user_sgpr_dispatch_id 0
		.amdhsa_user_sgpr_private_segment_size 0
		.amdhsa_wavefront_size32 1
		.amdhsa_uses_dynamic_stack 0
		.amdhsa_enable_private_segment 0
		.amdhsa_system_sgpr_workgroup_id_x 1
		.amdhsa_system_sgpr_workgroup_id_y 0
		.amdhsa_system_sgpr_workgroup_id_z 0
		.amdhsa_system_sgpr_workgroup_info 0
		.amdhsa_system_vgpr_workitem_id 0
		.amdhsa_next_free_vgpr 5
		.amdhsa_next_free_sgpr 4
		.amdhsa_reserve_vcc 1
		.amdhsa_float_round_mode_32 0
		.amdhsa_float_round_mode_16_64 0
		.amdhsa_float_denorm_mode_32 3
		.amdhsa_float_denorm_mode_16_64 3
		.amdhsa_fp16_overflow 0
		.amdhsa_workgroup_processor_mode 1
		.amdhsa_memory_ordered 1
		.amdhsa_forward_progress 1
		.amdhsa_inst_pref_size 1
		.amdhsa_round_robin_scheduling 0
		.amdhsa_exception_fp_ieee_invalid_op 0
		.amdhsa_exception_fp_denorm_src 0
		.amdhsa_exception_fp_ieee_div_zero 0
		.amdhsa_exception_fp_ieee_overflow 0
		.amdhsa_exception_fp_ieee_underflow 0
		.amdhsa_exception_fp_ieee_inexact 0
		.amdhsa_exception_int_div_zero 0
	.end_amdhsa_kernel
	.section	.text._Z23cvt_float2_fp8x2_float2ILb0EEvP15HIP_vector_typeIfLj2EEm,"axG",@progbits,_Z23cvt_float2_fp8x2_float2ILb0EEvP15HIP_vector_typeIfLj2EEm,comdat
.Lfunc_end5:
	.size	_Z23cvt_float2_fp8x2_float2ILb0EEvP15HIP_vector_typeIfLj2EEm, .Lfunc_end5-_Z23cvt_float2_fp8x2_float2ILb0EEvP15HIP_vector_typeIfLj2EEm
                                        ; -- End function
	.set _Z23cvt_float2_fp8x2_float2ILb0EEvP15HIP_vector_typeIfLj2EEm.num_vgpr, 5
	.set _Z23cvt_float2_fp8x2_float2ILb0EEvP15HIP_vector_typeIfLj2EEm.num_agpr, 0
	.set _Z23cvt_float2_fp8x2_float2ILb0EEvP15HIP_vector_typeIfLj2EEm.numbered_sgpr, 4
	.set _Z23cvt_float2_fp8x2_float2ILb0EEvP15HIP_vector_typeIfLj2EEm.num_named_barrier, 0
	.set _Z23cvt_float2_fp8x2_float2ILb0EEvP15HIP_vector_typeIfLj2EEm.private_seg_size, 0
	.set _Z23cvt_float2_fp8x2_float2ILb0EEvP15HIP_vector_typeIfLj2EEm.uses_vcc, 1
	.set _Z23cvt_float2_fp8x2_float2ILb0EEvP15HIP_vector_typeIfLj2EEm.uses_flat_scratch, 0
	.set _Z23cvt_float2_fp8x2_float2ILb0EEvP15HIP_vector_typeIfLj2EEm.has_dyn_sized_stack, 0
	.set _Z23cvt_float2_fp8x2_float2ILb0EEvP15HIP_vector_typeIfLj2EEm.has_recursion, 0
	.set _Z23cvt_float2_fp8x2_float2ILb0EEvP15HIP_vector_typeIfLj2EEm.has_indirect_call, 0
	.section	.AMDGPU.csdata,"",@progbits
; Kernel info:
; codeLenInByte = 92
; TotalNumSgprs: 6
; NumVgprs: 5
; ScratchSize: 0
; MemoryBound: 0
; FloatMode: 240
; IeeeMode: 1
; LDSByteSize: 0 bytes/workgroup (compile time only)
; SGPRBlocks: 0
; VGPRBlocks: 0
; NumSGPRsForWavesPerEU: 6
; NumVGPRsForWavesPerEU: 5
; Occupancy: 16
; WaveLimiterHint : 0
; COMPUTE_PGM_RSRC2:SCRATCH_EN: 0
; COMPUTE_PGM_RSRC2:USER_SGPR: 2
; COMPUTE_PGM_RSRC2:TRAP_HANDLER: 0
; COMPUTE_PGM_RSRC2:TGID_X_EN: 1
; COMPUTE_PGM_RSRC2:TGID_Y_EN: 0
; COMPUTE_PGM_RSRC2:TGID_Z_EN: 0
; COMPUTE_PGM_RSRC2:TIDIG_COMP_CNT: 0
	.section	.text._Z23cvt_float4_fp8x4_float4ILb1EEvP15HIP_vector_typeIfLj4EEm,"axG",@progbits,_Z23cvt_float4_fp8x4_float4ILb1EEvP15HIP_vector_typeIfLj4EEm,comdat
	.protected	_Z23cvt_float4_fp8x4_float4ILb1EEvP15HIP_vector_typeIfLj4EEm ; -- Begin function _Z23cvt_float4_fp8x4_float4ILb1EEvP15HIP_vector_typeIfLj4EEm
	.globl	_Z23cvt_float4_fp8x4_float4ILb1EEvP15HIP_vector_typeIfLj4EEm
	.p2align	8
	.type	_Z23cvt_float4_fp8x4_float4ILb1EEvP15HIP_vector_typeIfLj4EEm,@function
_Z23cvt_float4_fp8x4_float4ILb1EEvP15HIP_vector_typeIfLj4EEm: ; @_Z23cvt_float4_fp8x4_float4ILb1EEvP15HIP_vector_typeIfLj4EEm
; %bb.0:
	s_load_b128 s[0:3], s[0:1], 0x0
	v_mov_b32_e32 v1, 0
	s_wait_kmcnt 0x0
	s_delay_alu instid0(VALU_DEP_1)
	v_cmp_gt_u64_e32 vcc_lo, s[2:3], v[0:1]
	s_and_saveexec_b32 s2, vcc_lo
	s_cbranch_execz .LBB6_2
; %bb.1:
	v_dual_mov_b32 v9, v1 :: v_dual_lshlrev_b32 v6, 4, v0
	s_mov_b32 s2, 0x43e00000
	global_load_b128 v[2:5], v6, s[0:1]
	s_wait_loadcnt 0x0
	s_wait_alu 0xfffe
	v_med3_num_f32 v7, v4, s2, 0xc3e00000
	v_cmp_nlg_f32_e64 vcc_lo, 0x7f800000, |v4|
	v_med3_num_f32 v10, v5, s2, 0xc3e00000
	v_med3_num_f32 v11, v3, s2, 0xc3e00000
	s_delay_alu instid0(VALU_DEP_4) | instskip(SKIP_3) | instid1(VALU_DEP_4)
	v_cndmask_b32_e32 v4, v7, v4, vcc_lo
	v_cmp_nlg_f32_e64 vcc_lo, 0x7f800000, |v5|
	v_mov_b32_e32 v0, v1
	v_med3_num_f32 v7, v2, s2, 0xc3e00000
	v_cvt_pk_fp8_f32 v9, v4, v4
	s_wait_alu 0xfffd
	v_cndmask_b32_e32 v5, v10, v5, vcc_lo
	v_cmp_nlg_f32_e64 vcc_lo, 0x7f800000, |v3|
	v_mov_b32_e32 v8, v1
	v_lshlrev_b32_e32 v4, 16, v9
	s_delay_alu instid0(VALU_DEP_4) | instskip(SKIP_3) | instid1(VALU_DEP_3)
	v_cvt_pk_fp8_f32 v1, v5, v5
	s_wait_alu 0xfffd
	v_cndmask_b32_e32 v3, v11, v3, vcc_lo
	v_cmp_nlg_f32_e64 vcc_lo, 0x7f800000, |v2|
	v_perm_b32 v1, v1, v4, 0x4020c0c
	s_delay_alu instid0(VALU_DEP_3) | instskip(SKIP_2) | instid1(VALU_DEP_3)
	v_cvt_pk_fp8_f32 v8, v3, v3
	s_wait_alu 0xfffd
	v_cndmask_b32_e32 v2, v7, v2, vcc_lo
	v_lshrrev_b32_e32 v1, 16, v1
	s_delay_alu instid0(VALU_DEP_2) | instskip(SKIP_1) | instid1(VALU_DEP_1)
	v_cvt_pk_fp8_f32 v0, v2, v2
	v_lshlrev_b32_e32 v2, 8, v8
	v_perm_b32 v0, v2, v0, 0xc0c0500
	s_delay_alu instid0(VALU_DEP_4) | instskip(NEXT) | instid1(VALU_DEP_2)
	v_cvt_pk_f32_fp8_e32 v[2:3], v1
	v_cvt_pk_f32_fp8_e32 v[0:1], v0
	global_store_b128 v6, v[0:3], s[0:1]
.LBB6_2:
	s_endpgm
	.section	.rodata,"a",@progbits
	.p2align	6, 0x0
	.amdhsa_kernel _Z23cvt_float4_fp8x4_float4ILb1EEvP15HIP_vector_typeIfLj4EEm
		.amdhsa_group_segment_fixed_size 0
		.amdhsa_private_segment_fixed_size 0
		.amdhsa_kernarg_size 16
		.amdhsa_user_sgpr_count 2
		.amdhsa_user_sgpr_dispatch_ptr 0
		.amdhsa_user_sgpr_queue_ptr 0
		.amdhsa_user_sgpr_kernarg_segment_ptr 1
		.amdhsa_user_sgpr_dispatch_id 0
		.amdhsa_user_sgpr_private_segment_size 0
		.amdhsa_wavefront_size32 1
		.amdhsa_uses_dynamic_stack 0
		.amdhsa_enable_private_segment 0
		.amdhsa_system_sgpr_workgroup_id_x 1
		.amdhsa_system_sgpr_workgroup_id_y 0
		.amdhsa_system_sgpr_workgroup_id_z 0
		.amdhsa_system_sgpr_workgroup_info 0
		.amdhsa_system_vgpr_workitem_id 0
		.amdhsa_next_free_vgpr 12
		.amdhsa_next_free_sgpr 4
		.amdhsa_reserve_vcc 1
		.amdhsa_float_round_mode_32 0
		.amdhsa_float_round_mode_16_64 0
		.amdhsa_float_denorm_mode_32 3
		.amdhsa_float_denorm_mode_16_64 3
		.amdhsa_fp16_overflow 0
		.amdhsa_workgroup_processor_mode 1
		.amdhsa_memory_ordered 1
		.amdhsa_forward_progress 1
		.amdhsa_inst_pref_size 3
		.amdhsa_round_robin_scheduling 0
		.amdhsa_exception_fp_ieee_invalid_op 0
		.amdhsa_exception_fp_denorm_src 0
		.amdhsa_exception_fp_ieee_div_zero 0
		.amdhsa_exception_fp_ieee_overflow 0
		.amdhsa_exception_fp_ieee_underflow 0
		.amdhsa_exception_fp_ieee_inexact 0
		.amdhsa_exception_int_div_zero 0
	.end_amdhsa_kernel
	.section	.text._Z23cvt_float4_fp8x4_float4ILb1EEvP15HIP_vector_typeIfLj4EEm,"axG",@progbits,_Z23cvt_float4_fp8x4_float4ILb1EEvP15HIP_vector_typeIfLj4EEm,comdat
.Lfunc_end6:
	.size	_Z23cvt_float4_fp8x4_float4ILb1EEvP15HIP_vector_typeIfLj4EEm, .Lfunc_end6-_Z23cvt_float4_fp8x4_float4ILb1EEvP15HIP_vector_typeIfLj4EEm
                                        ; -- End function
	.set _Z23cvt_float4_fp8x4_float4ILb1EEvP15HIP_vector_typeIfLj4EEm.num_vgpr, 12
	.set _Z23cvt_float4_fp8x4_float4ILb1EEvP15HIP_vector_typeIfLj4EEm.num_agpr, 0
	.set _Z23cvt_float4_fp8x4_float4ILb1EEvP15HIP_vector_typeIfLj4EEm.numbered_sgpr, 4
	.set _Z23cvt_float4_fp8x4_float4ILb1EEvP15HIP_vector_typeIfLj4EEm.num_named_barrier, 0
	.set _Z23cvt_float4_fp8x4_float4ILb1EEvP15HIP_vector_typeIfLj4EEm.private_seg_size, 0
	.set _Z23cvt_float4_fp8x4_float4ILb1EEvP15HIP_vector_typeIfLj4EEm.uses_vcc, 1
	.set _Z23cvt_float4_fp8x4_float4ILb1EEvP15HIP_vector_typeIfLj4EEm.uses_flat_scratch, 0
	.set _Z23cvt_float4_fp8x4_float4ILb1EEvP15HIP_vector_typeIfLj4EEm.has_dyn_sized_stack, 0
	.set _Z23cvt_float4_fp8x4_float4ILb1EEvP15HIP_vector_typeIfLj4EEm.has_recursion, 0
	.set _Z23cvt_float4_fp8x4_float4ILb1EEvP15HIP_vector_typeIfLj4EEm.has_indirect_call, 0
	.section	.AMDGPU.csdata,"",@progbits
; Kernel info:
; codeLenInByte = 312
; TotalNumSgprs: 6
; NumVgprs: 12
; ScratchSize: 0
; MemoryBound: 0
; FloatMode: 240
; IeeeMode: 1
; LDSByteSize: 0 bytes/workgroup (compile time only)
; SGPRBlocks: 0
; VGPRBlocks: 1
; NumSGPRsForWavesPerEU: 6
; NumVGPRsForWavesPerEU: 12
; Occupancy: 16
; WaveLimiterHint : 0
; COMPUTE_PGM_RSRC2:SCRATCH_EN: 0
; COMPUTE_PGM_RSRC2:USER_SGPR: 2
; COMPUTE_PGM_RSRC2:TRAP_HANDLER: 0
; COMPUTE_PGM_RSRC2:TGID_X_EN: 1
; COMPUTE_PGM_RSRC2:TGID_Y_EN: 0
; COMPUTE_PGM_RSRC2:TGID_Z_EN: 0
; COMPUTE_PGM_RSRC2:TIDIG_COMP_CNT: 0
	.section	.text._Z23cvt_float4_fp8x4_float4ILb0EEvP15HIP_vector_typeIfLj4EEm,"axG",@progbits,_Z23cvt_float4_fp8x4_float4ILb0EEvP15HIP_vector_typeIfLj4EEm,comdat
	.protected	_Z23cvt_float4_fp8x4_float4ILb0EEvP15HIP_vector_typeIfLj4EEm ; -- Begin function _Z23cvt_float4_fp8x4_float4ILb0EEvP15HIP_vector_typeIfLj4EEm
	.globl	_Z23cvt_float4_fp8x4_float4ILb0EEvP15HIP_vector_typeIfLj4EEm
	.p2align	8
	.type	_Z23cvt_float4_fp8x4_float4ILb0EEvP15HIP_vector_typeIfLj4EEm,@function
_Z23cvt_float4_fp8x4_float4ILb0EEvP15HIP_vector_typeIfLj4EEm: ; @_Z23cvt_float4_fp8x4_float4ILb0EEvP15HIP_vector_typeIfLj4EEm
; %bb.0:
	s_load_b128 s[0:3], s[0:1], 0x0
	v_mov_b32_e32 v1, 0
	s_wait_kmcnt 0x0
	s_delay_alu instid0(VALU_DEP_1)
	v_cmp_gt_u64_e32 vcc_lo, s[2:3], v[0:1]
	s_and_saveexec_b32 s2, vcc_lo
	s_cbranch_execz .LBB7_2
; %bb.1:
	v_dual_mov_b32 v9, v1 :: v_dual_lshlrev_b32 v6, 4, v0
	s_mov_b32 s2, 0x47600000
	global_load_b128 v[2:5], v6, s[0:1]
	s_wait_loadcnt 0x0
	s_wait_alu 0xfffe
	v_med3_num_f32 v7, v4, s2, 0xc7600000
	v_cmp_nlg_f32_e64 vcc_lo, 0x7f800000, |v4|
	v_med3_num_f32 v10, v5, s2, 0xc7600000
	v_med3_num_f32 v11, v3, s2, 0xc7600000
	s_delay_alu instid0(VALU_DEP_4) | instskip(SKIP_3) | instid1(VALU_DEP_4)
	v_cndmask_b32_e32 v4, v7, v4, vcc_lo
	v_cmp_nlg_f32_e64 vcc_lo, 0x7f800000, |v5|
	v_mov_b32_e32 v0, v1
	v_med3_num_f32 v7, v2, s2, 0xc7600000
	v_cvt_pk_bf8_f32 v9, v4, v4
	s_wait_alu 0xfffd
	v_cndmask_b32_e32 v5, v10, v5, vcc_lo
	v_cmp_nlg_f32_e64 vcc_lo, 0x7f800000, |v3|
	v_mov_b32_e32 v8, v1
	v_lshlrev_b32_e32 v4, 16, v9
	s_delay_alu instid0(VALU_DEP_4) | instskip(SKIP_3) | instid1(VALU_DEP_3)
	v_cvt_pk_bf8_f32 v1, v5, v5
	s_wait_alu 0xfffd
	v_cndmask_b32_e32 v3, v11, v3, vcc_lo
	v_cmp_nlg_f32_e64 vcc_lo, 0x7f800000, |v2|
	v_perm_b32 v1, v1, v4, 0x4020c0c
	s_delay_alu instid0(VALU_DEP_3) | instskip(SKIP_2) | instid1(VALU_DEP_3)
	v_cvt_pk_bf8_f32 v8, v3, v3
	s_wait_alu 0xfffd
	v_cndmask_b32_e32 v2, v7, v2, vcc_lo
	v_lshrrev_b32_e32 v1, 16, v1
	s_delay_alu instid0(VALU_DEP_2) | instskip(SKIP_1) | instid1(VALU_DEP_1)
	v_cvt_pk_bf8_f32 v0, v2, v2
	v_lshlrev_b32_e32 v2, 8, v8
	v_perm_b32 v0, v2, v0, 0xc0c0500
	s_delay_alu instid0(VALU_DEP_4) | instskip(NEXT) | instid1(VALU_DEP_2)
	v_cvt_pk_f32_bf8_e32 v[2:3], v1
	v_cvt_pk_f32_bf8_e32 v[0:1], v0
	global_store_b128 v6, v[0:3], s[0:1]
.LBB7_2:
	s_endpgm
	.section	.rodata,"a",@progbits
	.p2align	6, 0x0
	.amdhsa_kernel _Z23cvt_float4_fp8x4_float4ILb0EEvP15HIP_vector_typeIfLj4EEm
		.amdhsa_group_segment_fixed_size 0
		.amdhsa_private_segment_fixed_size 0
		.amdhsa_kernarg_size 16
		.amdhsa_user_sgpr_count 2
		.amdhsa_user_sgpr_dispatch_ptr 0
		.amdhsa_user_sgpr_queue_ptr 0
		.amdhsa_user_sgpr_kernarg_segment_ptr 1
		.amdhsa_user_sgpr_dispatch_id 0
		.amdhsa_user_sgpr_private_segment_size 0
		.amdhsa_wavefront_size32 1
		.amdhsa_uses_dynamic_stack 0
		.amdhsa_enable_private_segment 0
		.amdhsa_system_sgpr_workgroup_id_x 1
		.amdhsa_system_sgpr_workgroup_id_y 0
		.amdhsa_system_sgpr_workgroup_id_z 0
		.amdhsa_system_sgpr_workgroup_info 0
		.amdhsa_system_vgpr_workitem_id 0
		.amdhsa_next_free_vgpr 12
		.amdhsa_next_free_sgpr 4
		.amdhsa_reserve_vcc 1
		.amdhsa_float_round_mode_32 0
		.amdhsa_float_round_mode_16_64 0
		.amdhsa_float_denorm_mode_32 3
		.amdhsa_float_denorm_mode_16_64 3
		.amdhsa_fp16_overflow 0
		.amdhsa_workgroup_processor_mode 1
		.amdhsa_memory_ordered 1
		.amdhsa_forward_progress 1
		.amdhsa_inst_pref_size 3
		.amdhsa_round_robin_scheduling 0
		.amdhsa_exception_fp_ieee_invalid_op 0
		.amdhsa_exception_fp_denorm_src 0
		.amdhsa_exception_fp_ieee_div_zero 0
		.amdhsa_exception_fp_ieee_overflow 0
		.amdhsa_exception_fp_ieee_underflow 0
		.amdhsa_exception_fp_ieee_inexact 0
		.amdhsa_exception_int_div_zero 0
	.end_amdhsa_kernel
	.section	.text._Z23cvt_float4_fp8x4_float4ILb0EEvP15HIP_vector_typeIfLj4EEm,"axG",@progbits,_Z23cvt_float4_fp8x4_float4ILb0EEvP15HIP_vector_typeIfLj4EEm,comdat
.Lfunc_end7:
	.size	_Z23cvt_float4_fp8x4_float4ILb0EEvP15HIP_vector_typeIfLj4EEm, .Lfunc_end7-_Z23cvt_float4_fp8x4_float4ILb0EEvP15HIP_vector_typeIfLj4EEm
                                        ; -- End function
	.set _Z23cvt_float4_fp8x4_float4ILb0EEvP15HIP_vector_typeIfLj4EEm.num_vgpr, 12
	.set _Z23cvt_float4_fp8x4_float4ILb0EEvP15HIP_vector_typeIfLj4EEm.num_agpr, 0
	.set _Z23cvt_float4_fp8x4_float4ILb0EEvP15HIP_vector_typeIfLj4EEm.numbered_sgpr, 4
	.set _Z23cvt_float4_fp8x4_float4ILb0EEvP15HIP_vector_typeIfLj4EEm.num_named_barrier, 0
	.set _Z23cvt_float4_fp8x4_float4ILb0EEvP15HIP_vector_typeIfLj4EEm.private_seg_size, 0
	.set _Z23cvt_float4_fp8x4_float4ILb0EEvP15HIP_vector_typeIfLj4EEm.uses_vcc, 1
	.set _Z23cvt_float4_fp8x4_float4ILb0EEvP15HIP_vector_typeIfLj4EEm.uses_flat_scratch, 0
	.set _Z23cvt_float4_fp8x4_float4ILb0EEvP15HIP_vector_typeIfLj4EEm.has_dyn_sized_stack, 0
	.set _Z23cvt_float4_fp8x4_float4ILb0EEvP15HIP_vector_typeIfLj4EEm.has_recursion, 0
	.set _Z23cvt_float4_fp8x4_float4ILb0EEvP15HIP_vector_typeIfLj4EEm.has_indirect_call, 0
	.section	.AMDGPU.csdata,"",@progbits
; Kernel info:
; codeLenInByte = 312
; TotalNumSgprs: 6
; NumVgprs: 12
; ScratchSize: 0
; MemoryBound: 0
; FloatMode: 240
; IeeeMode: 1
; LDSByteSize: 0 bytes/workgroup (compile time only)
; SGPRBlocks: 0
; VGPRBlocks: 1
; NumSGPRsForWavesPerEU: 6
; NumVGPRsForWavesPerEU: 12
; Occupancy: 16
; WaveLimiterHint : 0
; COMPUTE_PGM_RSRC2:SCRATCH_EN: 0
; COMPUTE_PGM_RSRC2:USER_SGPR: 2
; COMPUTE_PGM_RSRC2:TRAP_HANDLER: 0
; COMPUTE_PGM_RSRC2:TGID_X_EN: 1
; COMPUTE_PGM_RSRC2:TGID_Y_EN: 0
; COMPUTE_PGM_RSRC2:TGID_Z_EN: 0
; COMPUTE_PGM_RSRC2:TIDIG_COMP_CNT: 0
	.section	.text._Z10fp8_2_boolILb1EEvPfPbm,"axG",@progbits,_Z10fp8_2_boolILb1EEvPfPbm,comdat
	.protected	_Z10fp8_2_boolILb1EEvPfPbm ; -- Begin function _Z10fp8_2_boolILb1EEvPfPbm
	.globl	_Z10fp8_2_boolILb1EEvPfPbm
	.p2align	8
	.type	_Z10fp8_2_boolILb1EEvPfPbm,@function
_Z10fp8_2_boolILb1EEvPfPbm:             ; @_Z10fp8_2_boolILb1EEvPfPbm
; %bb.0:
	s_load_b64 s[2:3], s[0:1], 0x10
	v_mov_b32_e32 v1, 0
	s_wait_kmcnt 0x0
	s_delay_alu instid0(VALU_DEP_1)
	v_cmp_gt_u64_e32 vcc_lo, s[2:3], v[0:1]
	s_and_saveexec_b32 s2, vcc_lo
	s_cbranch_execz .LBB8_2
; %bb.1:
	s_load_b128 s[0:3], s[0:1], 0x0
	v_lshlrev_b32_e32 v2, 2, v0
	s_wait_kmcnt 0x0
	global_load_b32 v2, v2, s[0:1]
	s_mov_b32 s0, 0x43e00000
	s_wait_loadcnt 0x0
	v_med3_num_f32 v3, v2, s0, 0xc3e00000
	v_cmp_nlg_f32_e64 vcc_lo, 0x7f800000, |v2|
	v_add_co_u32 v0, s0, s2, v0
	s_delay_alu instid0(VALU_DEP_3) | instskip(NEXT) | instid1(VALU_DEP_1)
	v_cndmask_b32_e32 v2, v3, v2, vcc_lo
	v_cvt_pk_fp8_f32 v1, v2, v2
	s_delay_alu instid0(VALU_DEP_1) | instskip(NEXT) | instid1(VALU_DEP_1)
	v_and_b32_e32 v1, 0x7f, v1
	v_cmp_ne_u32_e32 vcc_lo, 0, v1
	s_wait_alu 0xf1ff
	v_add_co_ci_u32_e64 v1, null, s3, 0, s0
	s_wait_alu 0xfffd
	v_cndmask_b32_e64 v2, 0, 1, vcc_lo
	global_store_b8 v[0:1], v2, off
.LBB8_2:
	s_endpgm
	.section	.rodata,"a",@progbits
	.p2align	6, 0x0
	.amdhsa_kernel _Z10fp8_2_boolILb1EEvPfPbm
		.amdhsa_group_segment_fixed_size 0
		.amdhsa_private_segment_fixed_size 0
		.amdhsa_kernarg_size 24
		.amdhsa_user_sgpr_count 2
		.amdhsa_user_sgpr_dispatch_ptr 0
		.amdhsa_user_sgpr_queue_ptr 0
		.amdhsa_user_sgpr_kernarg_segment_ptr 1
		.amdhsa_user_sgpr_dispatch_id 0
		.amdhsa_user_sgpr_private_segment_size 0
		.amdhsa_wavefront_size32 1
		.amdhsa_uses_dynamic_stack 0
		.amdhsa_enable_private_segment 0
		.amdhsa_system_sgpr_workgroup_id_x 1
		.amdhsa_system_sgpr_workgroup_id_y 0
		.amdhsa_system_sgpr_workgroup_id_z 0
		.amdhsa_system_sgpr_workgroup_info 0
		.amdhsa_system_vgpr_workitem_id 0
		.amdhsa_next_free_vgpr 4
		.amdhsa_next_free_sgpr 4
		.amdhsa_reserve_vcc 1
		.amdhsa_float_round_mode_32 0
		.amdhsa_float_round_mode_16_64 0
		.amdhsa_float_denorm_mode_32 3
		.amdhsa_float_denorm_mode_16_64 3
		.amdhsa_fp16_overflow 0
		.amdhsa_workgroup_processor_mode 1
		.amdhsa_memory_ordered 1
		.amdhsa_forward_progress 1
		.amdhsa_inst_pref_size 2
		.amdhsa_round_robin_scheduling 0
		.amdhsa_exception_fp_ieee_invalid_op 0
		.amdhsa_exception_fp_denorm_src 0
		.amdhsa_exception_fp_ieee_div_zero 0
		.amdhsa_exception_fp_ieee_overflow 0
		.amdhsa_exception_fp_ieee_underflow 0
		.amdhsa_exception_fp_ieee_inexact 0
		.amdhsa_exception_int_div_zero 0
	.end_amdhsa_kernel
	.section	.text._Z10fp8_2_boolILb1EEvPfPbm,"axG",@progbits,_Z10fp8_2_boolILb1EEvPfPbm,comdat
.Lfunc_end8:
	.size	_Z10fp8_2_boolILb1EEvPfPbm, .Lfunc_end8-_Z10fp8_2_boolILb1EEvPfPbm
                                        ; -- End function
	.set _Z10fp8_2_boolILb1EEvPfPbm.num_vgpr, 4
	.set _Z10fp8_2_boolILb1EEvPfPbm.num_agpr, 0
	.set _Z10fp8_2_boolILb1EEvPfPbm.numbered_sgpr, 4
	.set _Z10fp8_2_boolILb1EEvPfPbm.num_named_barrier, 0
	.set _Z10fp8_2_boolILb1EEvPfPbm.private_seg_size, 0
	.set _Z10fp8_2_boolILb1EEvPfPbm.uses_vcc, 1
	.set _Z10fp8_2_boolILb1EEvPfPbm.uses_flat_scratch, 0
	.set _Z10fp8_2_boolILb1EEvPfPbm.has_dyn_sized_stack, 0
	.set _Z10fp8_2_boolILb1EEvPfPbm.has_recursion, 0
	.set _Z10fp8_2_boolILb1EEvPfPbm.has_indirect_call, 0
	.section	.AMDGPU.csdata,"",@progbits
; Kernel info:
; codeLenInByte = 176
; TotalNumSgprs: 6
; NumVgprs: 4
; ScratchSize: 0
; MemoryBound: 0
; FloatMode: 240
; IeeeMode: 1
; LDSByteSize: 0 bytes/workgroup (compile time only)
; SGPRBlocks: 0
; VGPRBlocks: 0
; NumSGPRsForWavesPerEU: 6
; NumVGPRsForWavesPerEU: 4
; Occupancy: 16
; WaveLimiterHint : 0
; COMPUTE_PGM_RSRC2:SCRATCH_EN: 0
; COMPUTE_PGM_RSRC2:USER_SGPR: 2
; COMPUTE_PGM_RSRC2:TRAP_HANDLER: 0
; COMPUTE_PGM_RSRC2:TGID_X_EN: 1
; COMPUTE_PGM_RSRC2:TGID_Y_EN: 0
; COMPUTE_PGM_RSRC2:TGID_Z_EN: 0
; COMPUTE_PGM_RSRC2:TIDIG_COMP_CNT: 0
	.section	.text._Z10fp8_2_boolILb0EEvPfPbm,"axG",@progbits,_Z10fp8_2_boolILb0EEvPfPbm,comdat
	.protected	_Z10fp8_2_boolILb0EEvPfPbm ; -- Begin function _Z10fp8_2_boolILb0EEvPfPbm
	.globl	_Z10fp8_2_boolILb0EEvPfPbm
	.p2align	8
	.type	_Z10fp8_2_boolILb0EEvPfPbm,@function
_Z10fp8_2_boolILb0EEvPfPbm:             ; @_Z10fp8_2_boolILb0EEvPfPbm
; %bb.0:
	s_load_b64 s[2:3], s[0:1], 0x10
	v_mov_b32_e32 v1, 0
	s_wait_kmcnt 0x0
	s_delay_alu instid0(VALU_DEP_1)
	v_cmp_gt_u64_e32 vcc_lo, s[2:3], v[0:1]
	s_and_saveexec_b32 s2, vcc_lo
	s_cbranch_execz .LBB9_2
; %bb.1:
	s_load_b128 s[0:3], s[0:1], 0x0
	v_lshlrev_b32_e32 v2, 2, v0
	s_wait_kmcnt 0x0
	global_load_b32 v2, v2, s[0:1]
	s_mov_b32 s0, 0x47600000
	s_wait_loadcnt 0x0
	v_med3_num_f32 v3, v2, s0, 0xc7600000
	v_cmp_nlg_f32_e64 vcc_lo, 0x7f800000, |v2|
	v_add_co_u32 v0, s0, s2, v0
	s_delay_alu instid0(VALU_DEP_3) | instskip(NEXT) | instid1(VALU_DEP_1)
	v_cndmask_b32_e32 v2, v3, v2, vcc_lo
	v_cvt_pk_bf8_f32 v1, v2, v2
	s_delay_alu instid0(VALU_DEP_1) | instskip(NEXT) | instid1(VALU_DEP_1)
	v_and_b32_e32 v1, 0x7f, v1
	v_cmp_ne_u32_e32 vcc_lo, 0, v1
	s_wait_alu 0xf1ff
	v_add_co_ci_u32_e64 v1, null, s3, 0, s0
	s_wait_alu 0xfffd
	v_cndmask_b32_e64 v2, 0, 1, vcc_lo
	global_store_b8 v[0:1], v2, off
.LBB9_2:
	s_endpgm
	.section	.rodata,"a",@progbits
	.p2align	6, 0x0
	.amdhsa_kernel _Z10fp8_2_boolILb0EEvPfPbm
		.amdhsa_group_segment_fixed_size 0
		.amdhsa_private_segment_fixed_size 0
		.amdhsa_kernarg_size 24
		.amdhsa_user_sgpr_count 2
		.amdhsa_user_sgpr_dispatch_ptr 0
		.amdhsa_user_sgpr_queue_ptr 0
		.amdhsa_user_sgpr_kernarg_segment_ptr 1
		.amdhsa_user_sgpr_dispatch_id 0
		.amdhsa_user_sgpr_private_segment_size 0
		.amdhsa_wavefront_size32 1
		.amdhsa_uses_dynamic_stack 0
		.amdhsa_enable_private_segment 0
		.amdhsa_system_sgpr_workgroup_id_x 1
		.amdhsa_system_sgpr_workgroup_id_y 0
		.amdhsa_system_sgpr_workgroup_id_z 0
		.amdhsa_system_sgpr_workgroup_info 0
		.amdhsa_system_vgpr_workitem_id 0
		.amdhsa_next_free_vgpr 4
		.amdhsa_next_free_sgpr 4
		.amdhsa_reserve_vcc 1
		.amdhsa_float_round_mode_32 0
		.amdhsa_float_round_mode_16_64 0
		.amdhsa_float_denorm_mode_32 3
		.amdhsa_float_denorm_mode_16_64 3
		.amdhsa_fp16_overflow 0
		.amdhsa_workgroup_processor_mode 1
		.amdhsa_memory_ordered 1
		.amdhsa_forward_progress 1
		.amdhsa_inst_pref_size 2
		.amdhsa_round_robin_scheduling 0
		.amdhsa_exception_fp_ieee_invalid_op 0
		.amdhsa_exception_fp_denorm_src 0
		.amdhsa_exception_fp_ieee_div_zero 0
		.amdhsa_exception_fp_ieee_overflow 0
		.amdhsa_exception_fp_ieee_underflow 0
		.amdhsa_exception_fp_ieee_inexact 0
		.amdhsa_exception_int_div_zero 0
	.end_amdhsa_kernel
	.section	.text._Z10fp8_2_boolILb0EEvPfPbm,"axG",@progbits,_Z10fp8_2_boolILb0EEvPfPbm,comdat
.Lfunc_end9:
	.size	_Z10fp8_2_boolILb0EEvPfPbm, .Lfunc_end9-_Z10fp8_2_boolILb0EEvPfPbm
                                        ; -- End function
	.set _Z10fp8_2_boolILb0EEvPfPbm.num_vgpr, 4
	.set _Z10fp8_2_boolILb0EEvPfPbm.num_agpr, 0
	.set _Z10fp8_2_boolILb0EEvPfPbm.numbered_sgpr, 4
	.set _Z10fp8_2_boolILb0EEvPfPbm.num_named_barrier, 0
	.set _Z10fp8_2_boolILb0EEvPfPbm.private_seg_size, 0
	.set _Z10fp8_2_boolILb0EEvPfPbm.uses_vcc, 1
	.set _Z10fp8_2_boolILb0EEvPfPbm.uses_flat_scratch, 0
	.set _Z10fp8_2_boolILb0EEvPfPbm.has_dyn_sized_stack, 0
	.set _Z10fp8_2_boolILb0EEvPfPbm.has_recursion, 0
	.set _Z10fp8_2_boolILb0EEvPfPbm.has_indirect_call, 0
	.section	.AMDGPU.csdata,"",@progbits
; Kernel info:
; codeLenInByte = 176
; TotalNumSgprs: 6
; NumVgprs: 4
; ScratchSize: 0
; MemoryBound: 0
; FloatMode: 240
; IeeeMode: 1
; LDSByteSize: 0 bytes/workgroup (compile time only)
; SGPRBlocks: 0
; VGPRBlocks: 0
; NumSGPRsForWavesPerEU: 6
; NumVGPRsForWavesPerEU: 4
; Occupancy: 16
; WaveLimiterHint : 0
; COMPUTE_PGM_RSRC2:SCRATCH_EN: 0
; COMPUTE_PGM_RSRC2:USER_SGPR: 2
; COMPUTE_PGM_RSRC2:TRAP_HANDLER: 0
; COMPUTE_PGM_RSRC2:TGID_X_EN: 1
; COMPUTE_PGM_RSRC2:TGID_Y_EN: 0
; COMPUTE_PGM_RSRC2:TGID_Z_EN: 0
; COMPUTE_PGM_RSRC2:TIDIG_COMP_CNT: 0
	.section	.text._Z11Type_to_fp8ILb1EEvPfPhm,"axG",@progbits,_Z11Type_to_fp8ILb1EEvPfPhm,comdat
	.protected	_Z11Type_to_fp8ILb1EEvPfPhm ; -- Begin function _Z11Type_to_fp8ILb1EEvPfPhm
	.globl	_Z11Type_to_fp8ILb1EEvPfPhm
	.p2align	8
	.type	_Z11Type_to_fp8ILb1EEvPfPhm,@function
_Z11Type_to_fp8ILb1EEvPfPhm:            ; @_Z11Type_to_fp8ILb1EEvPfPhm
; %bb.0:
	s_clause 0x1
	s_load_b32 s4, s[0:1], 0x24
	s_load_b64 s[2:3], s[0:1], 0x10
	s_wait_kmcnt 0x0
	s_and_b32 s4, s4, 0xffff
	s_delay_alu instid0(SALU_CYCLE_1) | instskip(SKIP_1) | instid1(VALU_DEP_1)
	v_mad_co_u64_u32 v[0:1], null, ttmp9, s4, v[0:1]
	v_mov_b32_e32 v1, 0
	v_cmp_gt_u64_e32 vcc_lo, s[2:3], v[0:1]
	s_and_saveexec_b32 s2, vcc_lo
	s_cbranch_execz .LBB10_2
; %bb.1:
	s_load_b128 s[0:3], s[0:1], 0x0
	v_lshlrev_b64_e32 v[2:3], 2, v[0:1]
	s_wait_kmcnt 0x0
	s_delay_alu instid0(VALU_DEP_1) | instskip(NEXT) | instid1(VALU_DEP_1)
	v_add_co_u32 v2, vcc_lo, s0, v2
	v_add_co_ci_u32_e64 v3, null, s1, v3, vcc_lo
	s_mov_b32 s0, 0x43e00000
	global_load_b32 v2, v[2:3], off
	s_wait_loadcnt 0x0
	s_wait_alu 0xfffe
	v_med3_num_f32 v3, v2, s0, 0xc3e00000
	v_cmp_nlg_f32_e64 vcc_lo, 0x7f800000, |v2|
	s_wait_alu 0xfffd
	s_delay_alu instid0(VALU_DEP_2) | instskip(NEXT) | instid1(VALU_DEP_1)
	v_cndmask_b32_e32 v2, v3, v2, vcc_lo
	v_cvt_pk_fp8_f32 v1, v2, v2
	v_add_co_u32 v2, s0, s2, v0
	s_wait_alu 0xf1ff
	v_add_co_ci_u32_e64 v3, null, s3, 0, s0
	global_store_b8 v[2:3], v1, off
.LBB10_2:
	s_endpgm
	.section	.rodata,"a",@progbits
	.p2align	6, 0x0
	.amdhsa_kernel _Z11Type_to_fp8ILb1EEvPfPhm
		.amdhsa_group_segment_fixed_size 0
		.amdhsa_private_segment_fixed_size 0
		.amdhsa_kernarg_size 280
		.amdhsa_user_sgpr_count 2
		.amdhsa_user_sgpr_dispatch_ptr 0
		.amdhsa_user_sgpr_queue_ptr 0
		.amdhsa_user_sgpr_kernarg_segment_ptr 1
		.amdhsa_user_sgpr_dispatch_id 0
		.amdhsa_user_sgpr_private_segment_size 0
		.amdhsa_wavefront_size32 1
		.amdhsa_uses_dynamic_stack 0
		.amdhsa_enable_private_segment 0
		.amdhsa_system_sgpr_workgroup_id_x 1
		.amdhsa_system_sgpr_workgroup_id_y 0
		.amdhsa_system_sgpr_workgroup_id_z 0
		.amdhsa_system_sgpr_workgroup_info 0
		.amdhsa_system_vgpr_workitem_id 0
		.amdhsa_next_free_vgpr 4
		.amdhsa_next_free_sgpr 5
		.amdhsa_reserve_vcc 1
		.amdhsa_float_round_mode_32 0
		.amdhsa_float_round_mode_16_64 0
		.amdhsa_float_denorm_mode_32 3
		.amdhsa_float_denorm_mode_16_64 3
		.amdhsa_fp16_overflow 0
		.amdhsa_workgroup_processor_mode 1
		.amdhsa_memory_ordered 1
		.amdhsa_forward_progress 1
		.amdhsa_inst_pref_size 2
		.amdhsa_round_robin_scheduling 0
		.amdhsa_exception_fp_ieee_invalid_op 0
		.amdhsa_exception_fp_denorm_src 0
		.amdhsa_exception_fp_ieee_div_zero 0
		.amdhsa_exception_fp_ieee_overflow 0
		.amdhsa_exception_fp_ieee_underflow 0
		.amdhsa_exception_fp_ieee_inexact 0
		.amdhsa_exception_int_div_zero 0
	.end_amdhsa_kernel
	.section	.text._Z11Type_to_fp8ILb1EEvPfPhm,"axG",@progbits,_Z11Type_to_fp8ILb1EEvPfPhm,comdat
.Lfunc_end10:
	.size	_Z11Type_to_fp8ILb1EEvPfPhm, .Lfunc_end10-_Z11Type_to_fp8ILb1EEvPfPhm
                                        ; -- End function
	.set _Z11Type_to_fp8ILb1EEvPfPhm.num_vgpr, 4
	.set _Z11Type_to_fp8ILb1EEvPfPhm.num_agpr, 0
	.set _Z11Type_to_fp8ILb1EEvPfPhm.numbered_sgpr, 5
	.set _Z11Type_to_fp8ILb1EEvPfPhm.num_named_barrier, 0
	.set _Z11Type_to_fp8ILb1EEvPfPhm.private_seg_size, 0
	.set _Z11Type_to_fp8ILb1EEvPfPhm.uses_vcc, 1
	.set _Z11Type_to_fp8ILb1EEvPfPhm.uses_flat_scratch, 0
	.set _Z11Type_to_fp8ILb1EEvPfPhm.has_dyn_sized_stack, 0
	.set _Z11Type_to_fp8ILb1EEvPfPhm.has_recursion, 0
	.set _Z11Type_to_fp8ILb1EEvPfPhm.has_indirect_call, 0
	.section	.AMDGPU.csdata,"",@progbits
; Kernel info:
; codeLenInByte = 204
; TotalNumSgprs: 7
; NumVgprs: 4
; ScratchSize: 0
; MemoryBound: 0
; FloatMode: 240
; IeeeMode: 1
; LDSByteSize: 0 bytes/workgroup (compile time only)
; SGPRBlocks: 0
; VGPRBlocks: 0
; NumSGPRsForWavesPerEU: 7
; NumVGPRsForWavesPerEU: 4
; Occupancy: 16
; WaveLimiterHint : 0
; COMPUTE_PGM_RSRC2:SCRATCH_EN: 0
; COMPUTE_PGM_RSRC2:USER_SGPR: 2
; COMPUTE_PGM_RSRC2:TRAP_HANDLER: 0
; COMPUTE_PGM_RSRC2:TGID_X_EN: 1
; COMPUTE_PGM_RSRC2:TGID_Y_EN: 0
; COMPUTE_PGM_RSRC2:TGID_Z_EN: 0
; COMPUTE_PGM_RSRC2:TIDIG_COMP_CNT: 0
	.section	.text._Z11Type_to_fp8ILb0EEvPfPhm,"axG",@progbits,_Z11Type_to_fp8ILb0EEvPfPhm,comdat
	.protected	_Z11Type_to_fp8ILb0EEvPfPhm ; -- Begin function _Z11Type_to_fp8ILb0EEvPfPhm
	.globl	_Z11Type_to_fp8ILb0EEvPfPhm
	.p2align	8
	.type	_Z11Type_to_fp8ILb0EEvPfPhm,@function
_Z11Type_to_fp8ILb0EEvPfPhm:            ; @_Z11Type_to_fp8ILb0EEvPfPhm
; %bb.0:
	s_clause 0x1
	s_load_b32 s4, s[0:1], 0x24
	s_load_b64 s[2:3], s[0:1], 0x10
	s_wait_kmcnt 0x0
	s_and_b32 s4, s4, 0xffff
	s_delay_alu instid0(SALU_CYCLE_1) | instskip(SKIP_1) | instid1(VALU_DEP_1)
	v_mad_co_u64_u32 v[0:1], null, ttmp9, s4, v[0:1]
	v_mov_b32_e32 v1, 0
	v_cmp_gt_u64_e32 vcc_lo, s[2:3], v[0:1]
	s_and_saveexec_b32 s2, vcc_lo
	s_cbranch_execz .LBB11_2
; %bb.1:
	s_load_b128 s[0:3], s[0:1], 0x0
	v_lshlrev_b64_e32 v[2:3], 2, v[0:1]
	s_wait_kmcnt 0x0
	s_delay_alu instid0(VALU_DEP_1) | instskip(NEXT) | instid1(VALU_DEP_1)
	v_add_co_u32 v2, vcc_lo, s0, v2
	v_add_co_ci_u32_e64 v3, null, s1, v3, vcc_lo
	s_mov_b32 s0, 0x47600000
	global_load_b32 v2, v[2:3], off
	s_wait_loadcnt 0x0
	s_wait_alu 0xfffe
	v_med3_num_f32 v3, v2, s0, 0xc7600000
	v_cmp_nlg_f32_e64 vcc_lo, 0x7f800000, |v2|
	s_wait_alu 0xfffd
	s_delay_alu instid0(VALU_DEP_2) | instskip(NEXT) | instid1(VALU_DEP_1)
	v_cndmask_b32_e32 v2, v3, v2, vcc_lo
	v_cvt_pk_bf8_f32 v1, v2, v2
	v_add_co_u32 v2, s0, s2, v0
	s_wait_alu 0xf1ff
	v_add_co_ci_u32_e64 v3, null, s3, 0, s0
	global_store_b8 v[2:3], v1, off
.LBB11_2:
	s_endpgm
	.section	.rodata,"a",@progbits
	.p2align	6, 0x0
	.amdhsa_kernel _Z11Type_to_fp8ILb0EEvPfPhm
		.amdhsa_group_segment_fixed_size 0
		.amdhsa_private_segment_fixed_size 0
		.amdhsa_kernarg_size 280
		.amdhsa_user_sgpr_count 2
		.amdhsa_user_sgpr_dispatch_ptr 0
		.amdhsa_user_sgpr_queue_ptr 0
		.amdhsa_user_sgpr_kernarg_segment_ptr 1
		.amdhsa_user_sgpr_dispatch_id 0
		.amdhsa_user_sgpr_private_segment_size 0
		.amdhsa_wavefront_size32 1
		.amdhsa_uses_dynamic_stack 0
		.amdhsa_enable_private_segment 0
		.amdhsa_system_sgpr_workgroup_id_x 1
		.amdhsa_system_sgpr_workgroup_id_y 0
		.amdhsa_system_sgpr_workgroup_id_z 0
		.amdhsa_system_sgpr_workgroup_info 0
		.amdhsa_system_vgpr_workitem_id 0
		.amdhsa_next_free_vgpr 4
		.amdhsa_next_free_sgpr 5
		.amdhsa_reserve_vcc 1
		.amdhsa_float_round_mode_32 0
		.amdhsa_float_round_mode_16_64 0
		.amdhsa_float_denorm_mode_32 3
		.amdhsa_float_denorm_mode_16_64 3
		.amdhsa_fp16_overflow 0
		.amdhsa_workgroup_processor_mode 1
		.amdhsa_memory_ordered 1
		.amdhsa_forward_progress 1
		.amdhsa_inst_pref_size 2
		.amdhsa_round_robin_scheduling 0
		.amdhsa_exception_fp_ieee_invalid_op 0
		.amdhsa_exception_fp_denorm_src 0
		.amdhsa_exception_fp_ieee_div_zero 0
		.amdhsa_exception_fp_ieee_overflow 0
		.amdhsa_exception_fp_ieee_underflow 0
		.amdhsa_exception_fp_ieee_inexact 0
		.amdhsa_exception_int_div_zero 0
	.end_amdhsa_kernel
	.section	.text._Z11Type_to_fp8ILb0EEvPfPhm,"axG",@progbits,_Z11Type_to_fp8ILb0EEvPfPhm,comdat
.Lfunc_end11:
	.size	_Z11Type_to_fp8ILb0EEvPfPhm, .Lfunc_end11-_Z11Type_to_fp8ILb0EEvPfPhm
                                        ; -- End function
	.set _Z11Type_to_fp8ILb0EEvPfPhm.num_vgpr, 4
	.set _Z11Type_to_fp8ILb0EEvPfPhm.num_agpr, 0
	.set _Z11Type_to_fp8ILb0EEvPfPhm.numbered_sgpr, 5
	.set _Z11Type_to_fp8ILb0EEvPfPhm.num_named_barrier, 0
	.set _Z11Type_to_fp8ILb0EEvPfPhm.private_seg_size, 0
	.set _Z11Type_to_fp8ILb0EEvPfPhm.uses_vcc, 1
	.set _Z11Type_to_fp8ILb0EEvPfPhm.uses_flat_scratch, 0
	.set _Z11Type_to_fp8ILb0EEvPfPhm.has_dyn_sized_stack, 0
	.set _Z11Type_to_fp8ILb0EEvPfPhm.has_recursion, 0
	.set _Z11Type_to_fp8ILb0EEvPfPhm.has_indirect_call, 0
	.section	.AMDGPU.csdata,"",@progbits
; Kernel info:
; codeLenInByte = 204
; TotalNumSgprs: 7
; NumVgprs: 4
; ScratchSize: 0
; MemoryBound: 0
; FloatMode: 240
; IeeeMode: 1
; LDSByteSize: 0 bytes/workgroup (compile time only)
; SGPRBlocks: 0
; VGPRBlocks: 0
; NumSGPRsForWavesPerEU: 7
; NumVGPRsForWavesPerEU: 4
; Occupancy: 16
; WaveLimiterHint : 0
; COMPUTE_PGM_RSRC2:SCRATCH_EN: 0
; COMPUTE_PGM_RSRC2:USER_SGPR: 2
; COMPUTE_PGM_RSRC2:TRAP_HANDLER: 0
; COMPUTE_PGM_RSRC2:TGID_X_EN: 1
; COMPUTE_PGM_RSRC2:TGID_Y_EN: 0
; COMPUTE_PGM_RSRC2:TGID_Z_EN: 0
; COMPUTE_PGM_RSRC2:TIDIG_COMP_CNT: 0
	.section	.text._Z15Type_to_fp8_cvtIfLb1EEvPT_PfS2_m,"axG",@progbits,_Z15Type_to_fp8_cvtIfLb1EEvPT_PfS2_m,comdat
	.protected	_Z15Type_to_fp8_cvtIfLb1EEvPT_PfS2_m ; -- Begin function _Z15Type_to_fp8_cvtIfLb1EEvPT_PfS2_m
	.globl	_Z15Type_to_fp8_cvtIfLb1EEvPT_PfS2_m
	.p2align	8
	.type	_Z15Type_to_fp8_cvtIfLb1EEvPT_PfS2_m,@function
_Z15Type_to_fp8_cvtIfLb1EEvPT_PfS2_m:   ; @_Z15Type_to_fp8_cvtIfLb1EEvPT_PfS2_m
; %bb.0:
	s_clause 0x1
	s_load_b32 s8, s[0:1], 0x2c
	s_load_b256 s[0:7], s[0:1], 0x0
	s_wait_kmcnt 0x0
	s_and_b32 s8, s8, 0xffff
	s_delay_alu instid0(SALU_CYCLE_1) | instskip(SKIP_1) | instid1(VALU_DEP_1)
	v_mad_co_u64_u32 v[0:1], null, ttmp9, s8, v[0:1]
	v_mov_b32_e32 v1, 0
	v_cmp_gt_u64_e32 vcc_lo, s[6:7], v[0:1]
	s_and_saveexec_b32 s6, vcc_lo
	s_cbranch_execz .LBB12_2
; %bb.1:
	v_lshlrev_b64_e32 v[2:3], 2, v[0:1]
	s_delay_alu instid0(VALU_DEP_1) | instskip(NEXT) | instid1(VALU_DEP_1)
	v_add_co_u32 v4, vcc_lo, s0, v2
	v_add_co_ci_u32_e64 v5, null, s1, v3, vcc_lo
	s_mov_b32 s0, 0x43e00000
	global_load_b32 v0, v[4:5], off
	s_wait_loadcnt 0x0
	s_wait_alu 0xfffe
	v_med3_num_f32 v4, v0, s0, 0xc3e00000
	v_cmp_nlg_f32_e64 vcc_lo, 0x7f800000, |v0|
	s_wait_alu 0xfffd
	s_delay_alu instid0(VALU_DEP_2) | instskip(NEXT) | instid1(VALU_DEP_1)
	v_cndmask_b32_e32 v0, v4, v0, vcc_lo
	v_cvt_pk_fp8_f32 v1, v0, v0
	v_add_co_u32 v0, vcc_lo, s2, v2
	s_delay_alu instid0(VALU_DEP_2) | instskip(SKIP_3) | instid1(VALU_DEP_3)
	v_and_b32_e32 v4, 0xff, v1
	s_wait_alu 0xfffd
	v_add_co_ci_u32_e64 v1, null, s3, v3, vcc_lo
	v_add_co_u32 v2, vcc_lo, s4, v2
	v_cvt_f32_fp8_e32 v4, v4
	s_wait_alu 0xfffd
	v_add_co_ci_u32_e64 v3, null, s5, v3, vcc_lo
	global_store_b32 v[0:1], v4, off
	global_store_b32 v[2:3], v4, off
.LBB12_2:
	s_endpgm
	.section	.rodata,"a",@progbits
	.p2align	6, 0x0
	.amdhsa_kernel _Z15Type_to_fp8_cvtIfLb1EEvPT_PfS2_m
		.amdhsa_group_segment_fixed_size 0
		.amdhsa_private_segment_fixed_size 0
		.amdhsa_kernarg_size 288
		.amdhsa_user_sgpr_count 2
		.amdhsa_user_sgpr_dispatch_ptr 0
		.amdhsa_user_sgpr_queue_ptr 0
		.amdhsa_user_sgpr_kernarg_segment_ptr 1
		.amdhsa_user_sgpr_dispatch_id 0
		.amdhsa_user_sgpr_private_segment_size 0
		.amdhsa_wavefront_size32 1
		.amdhsa_uses_dynamic_stack 0
		.amdhsa_enable_private_segment 0
		.amdhsa_system_sgpr_workgroup_id_x 1
		.amdhsa_system_sgpr_workgroup_id_y 0
		.amdhsa_system_sgpr_workgroup_id_z 0
		.amdhsa_system_sgpr_workgroup_info 0
		.amdhsa_system_vgpr_workitem_id 0
		.amdhsa_next_free_vgpr 6
		.amdhsa_next_free_sgpr 9
		.amdhsa_reserve_vcc 1
		.amdhsa_float_round_mode_32 0
		.amdhsa_float_round_mode_16_64 0
		.amdhsa_float_denorm_mode_32 3
		.amdhsa_float_denorm_mode_16_64 3
		.amdhsa_fp16_overflow 0
		.amdhsa_workgroup_processor_mode 1
		.amdhsa_memory_ordered 1
		.amdhsa_forward_progress 1
		.amdhsa_inst_pref_size 2
		.amdhsa_round_robin_scheduling 0
		.amdhsa_exception_fp_ieee_invalid_op 0
		.amdhsa_exception_fp_denorm_src 0
		.amdhsa_exception_fp_ieee_div_zero 0
		.amdhsa_exception_fp_ieee_overflow 0
		.amdhsa_exception_fp_ieee_underflow 0
		.amdhsa_exception_fp_ieee_inexact 0
		.amdhsa_exception_int_div_zero 0
	.end_amdhsa_kernel
	.section	.text._Z15Type_to_fp8_cvtIfLb1EEvPT_PfS2_m,"axG",@progbits,_Z15Type_to_fp8_cvtIfLb1EEvPT_PfS2_m,comdat
.Lfunc_end12:
	.size	_Z15Type_to_fp8_cvtIfLb1EEvPT_PfS2_m, .Lfunc_end12-_Z15Type_to_fp8_cvtIfLb1EEvPT_PfS2_m
                                        ; -- End function
	.set _Z15Type_to_fp8_cvtIfLb1EEvPT_PfS2_m.num_vgpr, 6
	.set _Z15Type_to_fp8_cvtIfLb1EEvPT_PfS2_m.num_agpr, 0
	.set _Z15Type_to_fp8_cvtIfLb1EEvPT_PfS2_m.numbered_sgpr, 9
	.set _Z15Type_to_fp8_cvtIfLb1EEvPT_PfS2_m.num_named_barrier, 0
	.set _Z15Type_to_fp8_cvtIfLb1EEvPT_PfS2_m.private_seg_size, 0
	.set _Z15Type_to_fp8_cvtIfLb1EEvPT_PfS2_m.uses_vcc, 1
	.set _Z15Type_to_fp8_cvtIfLb1EEvPT_PfS2_m.uses_flat_scratch, 0
	.set _Z15Type_to_fp8_cvtIfLb1EEvPT_PfS2_m.has_dyn_sized_stack, 0
	.set _Z15Type_to_fp8_cvtIfLb1EEvPT_PfS2_m.has_recursion, 0
	.set _Z15Type_to_fp8_cvtIfLb1EEvPT_PfS2_m.has_indirect_call, 0
	.section	.AMDGPU.csdata,"",@progbits
; Kernel info:
; codeLenInByte = 240
; TotalNumSgprs: 11
; NumVgprs: 6
; ScratchSize: 0
; MemoryBound: 0
; FloatMode: 240
; IeeeMode: 1
; LDSByteSize: 0 bytes/workgroup (compile time only)
; SGPRBlocks: 0
; VGPRBlocks: 0
; NumSGPRsForWavesPerEU: 11
; NumVGPRsForWavesPerEU: 6
; Occupancy: 16
; WaveLimiterHint : 0
; COMPUTE_PGM_RSRC2:SCRATCH_EN: 0
; COMPUTE_PGM_RSRC2:USER_SGPR: 2
; COMPUTE_PGM_RSRC2:TRAP_HANDLER: 0
; COMPUTE_PGM_RSRC2:TGID_X_EN: 1
; COMPUTE_PGM_RSRC2:TGID_Y_EN: 0
; COMPUTE_PGM_RSRC2:TGID_Z_EN: 0
; COMPUTE_PGM_RSRC2:TIDIG_COMP_CNT: 0
	.section	.text._Z15Type_to_fp8_cvtIfLb0EEvPT_PfS2_m,"axG",@progbits,_Z15Type_to_fp8_cvtIfLb0EEvPT_PfS2_m,comdat
	.protected	_Z15Type_to_fp8_cvtIfLb0EEvPT_PfS2_m ; -- Begin function _Z15Type_to_fp8_cvtIfLb0EEvPT_PfS2_m
	.globl	_Z15Type_to_fp8_cvtIfLb0EEvPT_PfS2_m
	.p2align	8
	.type	_Z15Type_to_fp8_cvtIfLb0EEvPT_PfS2_m,@function
_Z15Type_to_fp8_cvtIfLb0EEvPT_PfS2_m:   ; @_Z15Type_to_fp8_cvtIfLb0EEvPT_PfS2_m
; %bb.0:
	s_clause 0x1
	s_load_b32 s8, s[0:1], 0x2c
	s_load_b256 s[0:7], s[0:1], 0x0
	s_wait_kmcnt 0x0
	s_and_b32 s8, s8, 0xffff
	s_delay_alu instid0(SALU_CYCLE_1) | instskip(SKIP_1) | instid1(VALU_DEP_1)
	v_mad_co_u64_u32 v[0:1], null, ttmp9, s8, v[0:1]
	v_mov_b32_e32 v1, 0
	v_cmp_gt_u64_e32 vcc_lo, s[6:7], v[0:1]
	s_and_saveexec_b32 s6, vcc_lo
	s_cbranch_execz .LBB13_2
; %bb.1:
	v_lshlrev_b64_e32 v[2:3], 2, v[0:1]
	s_delay_alu instid0(VALU_DEP_1) | instskip(NEXT) | instid1(VALU_DEP_1)
	v_add_co_u32 v4, vcc_lo, s0, v2
	v_add_co_ci_u32_e64 v5, null, s1, v3, vcc_lo
	s_mov_b32 s0, 0x47600000
	global_load_b32 v0, v[4:5], off
	s_wait_loadcnt 0x0
	s_wait_alu 0xfffe
	v_med3_num_f32 v4, v0, s0, 0xc7600000
	v_cmp_nlg_f32_e64 vcc_lo, 0x7f800000, |v0|
	s_wait_alu 0xfffd
	s_delay_alu instid0(VALU_DEP_2) | instskip(NEXT) | instid1(VALU_DEP_1)
	v_cndmask_b32_e32 v0, v4, v0, vcc_lo
	v_cvt_pk_bf8_f32 v1, v0, v0
	v_add_co_u32 v0, vcc_lo, s2, v2
	s_delay_alu instid0(VALU_DEP_2) | instskip(SKIP_3) | instid1(VALU_DEP_3)
	v_and_b32_e32 v4, 0xff, v1
	s_wait_alu 0xfffd
	v_add_co_ci_u32_e64 v1, null, s3, v3, vcc_lo
	v_add_co_u32 v2, vcc_lo, s4, v2
	v_cvt_f32_bf8_e32 v4, v4
	s_wait_alu 0xfffd
	v_add_co_ci_u32_e64 v3, null, s5, v3, vcc_lo
	global_store_b32 v[0:1], v4, off
	global_store_b32 v[2:3], v4, off
.LBB13_2:
	s_endpgm
	.section	.rodata,"a",@progbits
	.p2align	6, 0x0
	.amdhsa_kernel _Z15Type_to_fp8_cvtIfLb0EEvPT_PfS2_m
		.amdhsa_group_segment_fixed_size 0
		.amdhsa_private_segment_fixed_size 0
		.amdhsa_kernarg_size 288
		.amdhsa_user_sgpr_count 2
		.amdhsa_user_sgpr_dispatch_ptr 0
		.amdhsa_user_sgpr_queue_ptr 0
		.amdhsa_user_sgpr_kernarg_segment_ptr 1
		.amdhsa_user_sgpr_dispatch_id 0
		.amdhsa_user_sgpr_private_segment_size 0
		.amdhsa_wavefront_size32 1
		.amdhsa_uses_dynamic_stack 0
		.amdhsa_enable_private_segment 0
		.amdhsa_system_sgpr_workgroup_id_x 1
		.amdhsa_system_sgpr_workgroup_id_y 0
		.amdhsa_system_sgpr_workgroup_id_z 0
		.amdhsa_system_sgpr_workgroup_info 0
		.amdhsa_system_vgpr_workitem_id 0
		.amdhsa_next_free_vgpr 6
		.amdhsa_next_free_sgpr 9
		.amdhsa_reserve_vcc 1
		.amdhsa_float_round_mode_32 0
		.amdhsa_float_round_mode_16_64 0
		.amdhsa_float_denorm_mode_32 3
		.amdhsa_float_denorm_mode_16_64 3
		.amdhsa_fp16_overflow 0
		.amdhsa_workgroup_processor_mode 1
		.amdhsa_memory_ordered 1
		.amdhsa_forward_progress 1
		.amdhsa_inst_pref_size 2
		.amdhsa_round_robin_scheduling 0
		.amdhsa_exception_fp_ieee_invalid_op 0
		.amdhsa_exception_fp_denorm_src 0
		.amdhsa_exception_fp_ieee_div_zero 0
		.amdhsa_exception_fp_ieee_overflow 0
		.amdhsa_exception_fp_ieee_underflow 0
		.amdhsa_exception_fp_ieee_inexact 0
		.amdhsa_exception_int_div_zero 0
	.end_amdhsa_kernel
	.section	.text._Z15Type_to_fp8_cvtIfLb0EEvPT_PfS2_m,"axG",@progbits,_Z15Type_to_fp8_cvtIfLb0EEvPT_PfS2_m,comdat
.Lfunc_end13:
	.size	_Z15Type_to_fp8_cvtIfLb0EEvPT_PfS2_m, .Lfunc_end13-_Z15Type_to_fp8_cvtIfLb0EEvPT_PfS2_m
                                        ; -- End function
	.set _Z15Type_to_fp8_cvtIfLb0EEvPT_PfS2_m.num_vgpr, 6
	.set _Z15Type_to_fp8_cvtIfLb0EEvPT_PfS2_m.num_agpr, 0
	.set _Z15Type_to_fp8_cvtIfLb0EEvPT_PfS2_m.numbered_sgpr, 9
	.set _Z15Type_to_fp8_cvtIfLb0EEvPT_PfS2_m.num_named_barrier, 0
	.set _Z15Type_to_fp8_cvtIfLb0EEvPT_PfS2_m.private_seg_size, 0
	.set _Z15Type_to_fp8_cvtIfLb0EEvPT_PfS2_m.uses_vcc, 1
	.set _Z15Type_to_fp8_cvtIfLb0EEvPT_PfS2_m.uses_flat_scratch, 0
	.set _Z15Type_to_fp8_cvtIfLb0EEvPT_PfS2_m.has_dyn_sized_stack, 0
	.set _Z15Type_to_fp8_cvtIfLb0EEvPT_PfS2_m.has_recursion, 0
	.set _Z15Type_to_fp8_cvtIfLb0EEvPT_PfS2_m.has_indirect_call, 0
	.section	.AMDGPU.csdata,"",@progbits
; Kernel info:
; codeLenInByte = 240
; TotalNumSgprs: 11
; NumVgprs: 6
; ScratchSize: 0
; MemoryBound: 0
; FloatMode: 240
; IeeeMode: 1
; LDSByteSize: 0 bytes/workgroup (compile time only)
; SGPRBlocks: 0
; VGPRBlocks: 0
; NumSGPRsForWavesPerEU: 11
; NumVGPRsForWavesPerEU: 6
; Occupancy: 16
; WaveLimiterHint : 0
; COMPUTE_PGM_RSRC2:SCRATCH_EN: 0
; COMPUTE_PGM_RSRC2:USER_SGPR: 2
; COMPUTE_PGM_RSRC2:TRAP_HANDLER: 0
; COMPUTE_PGM_RSRC2:TGID_X_EN: 1
; COMPUTE_PGM_RSRC2:TGID_Y_EN: 0
; COMPUTE_PGM_RSRC2:TGID_Z_EN: 0
; COMPUTE_PGM_RSRC2:TIDIG_COMP_CNT: 0
	.section	.text._Z15Type_to_fp8_cvtIdLb1EEvPT_PfS2_m,"axG",@progbits,_Z15Type_to_fp8_cvtIdLb1EEvPT_PfS2_m,comdat
	.protected	_Z15Type_to_fp8_cvtIdLb1EEvPT_PfS2_m ; -- Begin function _Z15Type_to_fp8_cvtIdLb1EEvPT_PfS2_m
	.globl	_Z15Type_to_fp8_cvtIdLb1EEvPT_PfS2_m
	.p2align	8
	.type	_Z15Type_to_fp8_cvtIdLb1EEvPT_PfS2_m,@function
_Z15Type_to_fp8_cvtIdLb1EEvPT_PfS2_m:   ; @_Z15Type_to_fp8_cvtIdLb1EEvPT_PfS2_m
; %bb.0:
	s_clause 0x1
	s_load_b32 s8, s[0:1], 0x2c
	s_load_b256 s[0:7], s[0:1], 0x0
	s_wait_kmcnt 0x0
	s_and_b32 s8, s8, 0xffff
	s_delay_alu instid0(SALU_CYCLE_1) | instskip(SKIP_1) | instid1(VALU_DEP_1)
	v_mad_co_u64_u32 v[4:5], null, ttmp9, s8, v[0:1]
	v_mov_b32_e32 v5, 0
	v_cmp_gt_u64_e32 vcc_lo, s[6:7], v[4:5]
	s_and_saveexec_b32 s6, vcc_lo
	s_cbranch_execz .LBB14_24
; %bb.1:
	v_lshlrev_b64_e32 v[0:1], 3, v[4:5]
	v_mov_b32_e32 v6, v5
	s_delay_alu instid0(VALU_DEP_2) | instskip(NEXT) | instid1(VALU_DEP_1)
	v_add_co_u32 v0, vcc_lo, s0, v0
	v_add_co_ci_u32_e64 v1, null, s1, v1, vcc_lo
	s_mov_b32 s0, 0
	s_mov_b32 s1, 0x7ff00000
	global_load_b64 v[2:3], v[0:1], off
	v_lshlrev_b64_e32 v[0:1], 2, v[4:5]
	s_delay_alu instid0(VALU_DEP_1) | instskip(SKIP_1) | instid1(VALU_DEP_2)
	v_add_co_u32 v4, vcc_lo, s2, v0
	s_wait_alu 0xfffd
	v_add_co_ci_u32_e64 v5, null, s3, v1, vcc_lo
	s_wait_loadcnt 0x0
	v_and_b32_e32 v7, 0x7ff00000, v3
	s_wait_alu 0xfffe
	s_delay_alu instid0(VALU_DEP_1)
	v_cmp_ne_u64_e32 vcc_lo, s[0:1], v[6:7]
	v_lshrrev_b32_e32 v6, 24, v3
	s_and_saveexec_b32 s0, vcc_lo
	s_wait_alu 0xfffe
	s_xor_b32 s3, exec_lo, s0
	s_cbranch_execz .LBB14_21
; %bb.2:
	v_dual_mov_b32 v7, v2 :: v_dual_and_b32 v8, 0x7fffffff, v3
	s_mov_b32 s0, 1
	s_mov_b32 s1, 0x407c0000
	v_and_b32_e32 v12, 0xfffff, v3
	v_bfe_u32 v11, v3, 20, 11
	s_wait_alu 0xfffe
	v_cmp_gt_u64_e32 vcc_lo, s[0:1], v[7:8]
	v_and_b32_e32 v10, 0x80, v6
                                        ; implicit-def: $vgpr7
	s_and_saveexec_b32 s0, vcc_lo
	s_wait_alu 0xfffe
	s_xor_b32 s6, exec_lo, s0
	s_cbranch_execz .LBB14_10
; %bb.3:
	v_mov_b32_e32 v7, 0
	s_mov_b32 s7, exec_lo
	v_cmpx_ne_u64_e32 0, v[2:3]
	s_cbranch_execz .LBB14_9
; %bb.4:
	v_sub_nc_u32_e64 v6, 0x3f9, v11 clamp
	v_cmp_eq_u32_e64 s0, 0, v11
	v_or_b32_e32 v7, 0x100000, v12
	s_wait_alu 0xf1ff
	s_delay_alu instid0(VALU_DEP_2) | instskip(SKIP_1) | instid1(VALU_DEP_3)
	v_cndmask_b32_e64 v19, v6, 0x3f8, s0
	v_mov_b32_e32 v6, v2
	v_cndmask_b32_e64 v7, v7, v12, s0
	s_delay_alu instid0(VALU_DEP_3) | instskip(SKIP_1) | instid1(VALU_DEP_3)
	v_add_nc_u32_e32 v8, 49, v19
	v_add_nc_u32_e32 v9, 48, v19
	v_lshrrev_b64 v[15:16], v19, v[6:7]
	s_delay_alu instid0(VALU_DEP_3) | instskip(NEXT) | instid1(VALU_DEP_3)
	v_lshlrev_b64_e64 v[13:14], v8, -1
	v_lshlrev_b64_e64 v[17:18], v9, 1
	s_delay_alu instid0(VALU_DEP_3) | instskip(NEXT) | instid1(VALU_DEP_3)
	v_dual_mov_b32 v8, 0 :: v_dual_and_b32 v9, 0x20000, v16
	v_bfi_b32 v7, v14, 0, v7
	s_delay_alu instid0(VALU_DEP_4) | instskip(NEXT) | instid1(VALU_DEP_3)
	v_bfi_b32 v6, v13, 0, v2
	v_cmp_eq_u64_e64 s1, 0, v[8:9]
	v_lshrrev_b32_e32 v9, 20, v16
	s_delay_alu instid0(VALU_DEP_3) | instskip(SKIP_1) | instid1(VALU_DEP_1)
	v_cmp_eq_u64_e64 s2, v[6:7], v[17:18]
	v_add_nc_u32_e32 v6, 0xfffffc08, v11
	v_cndmask_b32_e64 v6, v6, 0xfffffc09, s0
	s_and_b32 s1, s1, s2
	s_wait_alu 0xfffe
	v_cndmask_b32_e64 v7, 0, 1, s1
	s_mov_b32 s1, exec_lo
	v_add3_u32 v13, v6, v19, v9
	s_delay_alu instid0(VALU_DEP_2) | instskip(SKIP_2) | instid1(VALU_DEP_2)
	v_sub_co_u32 v7, s0, v15, v7
	s_wait_alu 0xf1ff
	v_subrev_co_ci_u32_e64 v14, null, 0, v16, s0
	v_add_co_u32 v6, s0, v7, v15
	s_delay_alu instid0(VALU_DEP_2) | instskip(SKIP_2) | instid1(VALU_DEP_2)
	v_and_b32_e32 v9, 0x1ffff, v14
	v_add_nc_u32_e32 v14, -1, v13
	s_wait_alu 0xf1ff
	v_add_co_ci_u32_e64 v7, null, v9, v16, s0
                                        ; implicit-def: $vgpr9
	s_delay_alu instid0(VALU_DEP_2)
	v_cmpx_ne_u32_e32 0, v14
	s_wait_alu 0xfffe
	s_xor_b32 s1, exec_lo, s1
; %bb.5:
	s_delay_alu instid0(VALU_DEP_2) | instskip(SKIP_1) | instid1(VALU_DEP_2)
	v_and_b32_e32 v9, 0x200000, v7
	v_bfe_u32 v15, v7, 21, 1
	v_cmp_eq_u64_e64 s0, 0, v[8:9]
	s_delay_alu instid0(VALU_DEP_2) | instskip(SKIP_1) | instid1(VALU_DEP_2)
	v_lshrrev_b64 v[6:7], v15, v[6:7]
	s_wait_alu 0xf1ff
	v_cndmask_b32_e64 v9, v13, v14, s0
; %bb.6:
	s_wait_alu 0xfffe
	s_and_not1_saveexec_b32 s0, s1
; %bb.7:
	s_delay_alu instid0(VALU_DEP_2)
	v_bfe_u32 v9, v7, 20, 1
; %bb.8:
	s_wait_alu 0xfffe
	s_or_b32 exec_lo, exec_lo, s0
	s_delay_alu instid0(VALU_DEP_1) | instskip(SKIP_3) | instid1(VALU_DEP_4)
	v_min_i32_e32 v6, 15, v9
	v_lshrrev_b32_e32 v7, 17, v7
	v_cmp_gt_i32_e64 s0, 16, v9
	v_cmp_eq_u32_e64 s1, 0, v9
	v_lshlrev_b32_e32 v8, 3, v6
	s_wait_alu 0xf1ff
	s_delay_alu instid0(VALU_DEP_3) | instskip(NEXT) | instid1(VALU_DEP_2)
	v_cndmask_b32_e64 v6, 7, v7, s0
	v_dual_mov_b32 v7, 0 :: v_dual_and_b32 v8, 0xf8, v8
	s_delay_alu instid0(VALU_DEP_1) | instskip(NEXT) | instid1(VALU_DEP_2)
	v_cmp_eq_u64_e64 s0, 0, v[6:7]
	v_and_or_b32 v6, v6, 7, v8
	s_and_b32 s0, s1, s0
	s_wait_alu 0xfffe
	s_delay_alu instid0(VALU_DEP_1) | instskip(NEXT) | instid1(VALU_DEP_1)
	v_cndmask_b32_e64 v6, v6, 0, s0
	v_or_b32_e32 v7, v6, v10
.LBB14_9:
	s_wait_alu 0xfffe
	s_or_b32 exec_lo, exec_lo, s7
.LBB14_10:
	s_wait_alu 0xfffe
	s_or_saveexec_b32 s0, s6
	v_or_b32_e32 v6, 0x7e, v10
	s_wait_alu 0xfffe
	s_xor_b32 exec_lo, exec_lo, s0
; %bb.11:
	v_or_b32_e32 v7, 0x7e, v10
; %bb.12:
	s_or_b32 exec_lo, exec_lo, s0
	s_delay_alu instid0(VALU_DEP_1)
	v_cvt_f32_fp8_e32 v7, v7
	global_store_b32 v[4:5], v7, off
	s_and_saveexec_b32 s0, vcc_lo
	s_wait_alu 0xfffe
	s_xor_b32 s2, exec_lo, s0
	s_cbranch_execz .LBB14_20
; %bb.13:
	v_mov_b32_e32 v6, 0
	s_mov_b32 s6, exec_lo
	v_cmpx_ne_u64_e32 0, v[2:3]
	s_cbranch_execz .LBB14_19
; %bb.14:
	v_sub_nc_u32_e64 v3, 0x3f9, v11 clamp
	v_cmp_eq_u32_e32 vcc_lo, 0, v11
	v_or_b32_e32 v4, 0x100000, v12
	s_wait_alu 0xfffd
	s_delay_alu instid0(VALU_DEP_3) | instskip(NEXT) | instid1(VALU_DEP_1)
	v_cndmask_b32_e64 v14, v3, 0x3f8, vcc_lo
	v_dual_cndmask_b32 v3, v4, v12 :: v_dual_add_nc_u32 v4, 49, v14
	v_add_nc_u32_e32 v5, 48, v14
	s_delay_alu instid0(VALU_DEP_2) | instskip(NEXT) | instid1(VALU_DEP_3)
	v_lshrrev_b64 v[8:9], v14, v[2:3]
	v_lshlrev_b64_e64 v[6:7], v4, -1
	v_mov_b32_e32 v4, 0
	s_delay_alu instid0(VALU_DEP_4) | instskip(NEXT) | instid1(VALU_DEP_4)
	v_lshlrev_b64_e64 v[12:13], v5, 1
	v_and_b32_e32 v5, 0x20000, v9
	s_delay_alu instid0(VALU_DEP_4) | instskip(SKIP_1) | instid1(VALU_DEP_3)
	v_bfi_b32 v3, v7, 0, v3
	v_bfi_b32 v2, v6, 0, v2
	v_cmp_eq_u64_e64 s0, 0, v[4:5]
	v_lshrrev_b32_e32 v5, 20, v9
	s_delay_alu instid0(VALU_DEP_3) | instskip(SKIP_1) | instid1(VALU_DEP_1)
	v_cmp_eq_u64_e64 s1, v[2:3], v[12:13]
	v_add_nc_u32_e32 v2, 0xfffffc08, v11
	v_cndmask_b32_e64 v2, v2, 0xfffffc09, vcc_lo
	s_and_b32 s0, s0, s1
	s_wait_alu 0xfffe
	v_cndmask_b32_e64 v3, 0, 1, s0
	s_mov_b32 s0, exec_lo
	v_add3_u32 v6, v2, v14, v5
	s_delay_alu instid0(VALU_DEP_2) | instskip(SKIP_2) | instid1(VALU_DEP_2)
	v_sub_co_u32 v3, vcc_lo, v8, v3
	s_wait_alu 0xfffd
	v_subrev_co_ci_u32_e64 v7, null, 0, v9, vcc_lo
	v_add_co_u32 v2, vcc_lo, v3, v8
	s_delay_alu instid0(VALU_DEP_2) | instskip(SKIP_2) | instid1(VALU_DEP_2)
	v_and_b32_e32 v5, 0x1ffff, v7
	v_add_nc_u32_e32 v7, -1, v6
	s_wait_alu 0xfffd
	v_add_co_ci_u32_e64 v3, null, v5, v9, vcc_lo
                                        ; implicit-def: $vgpr5
	s_delay_alu instid0(VALU_DEP_2)
	v_cmpx_ne_u32_e32 0, v7
	s_wait_alu 0xfffe
	s_xor_b32 s0, exec_lo, s0
; %bb.15:
	s_delay_alu instid0(VALU_DEP_2) | instskip(SKIP_1) | instid1(VALU_DEP_2)
	v_and_b32_e32 v5, 0x200000, v3
	v_bfe_u32 v8, v3, 21, 1
	v_cmp_eq_u64_e32 vcc_lo, 0, v[4:5]
	s_delay_alu instid0(VALU_DEP_2)
	v_lshrrev_b64 v[2:3], v8, v[2:3]
	s_wait_alu 0xfffd
	v_cndmask_b32_e32 v5, v6, v7, vcc_lo
; %bb.16:
	s_wait_alu 0xfffe
	s_and_not1_saveexec_b32 s0, s0
; %bb.17:
	s_delay_alu instid0(VALU_DEP_2)
	v_bfe_u32 v5, v3, 20, 1
; %bb.18:
	s_wait_alu 0xfffe
	s_or_b32 exec_lo, exec_lo, s0
	v_lshrrev_b32_e32 v2, 17, v3
	s_delay_alu instid0(VALU_DEP_2)
	v_cmp_gt_i32_e32 vcc_lo, 16, v5
	v_min_i32_e32 v4, 15, v5
	v_mov_b32_e32 v3, 0
	v_cmp_eq_u32_e64 s0, 0, v5
	s_wait_alu 0xfffd
	v_cndmask_b32_e32 v2, 7, v2, vcc_lo
	v_lshlrev_b32_e32 v4, 3, v4
	s_delay_alu instid0(VALU_DEP_2) | instskip(NEXT) | instid1(VALU_DEP_2)
	v_cmp_eq_u64_e32 vcc_lo, 0, v[2:3]
	v_and_or_b32 v2, v2, 7, v4
	s_and_b32 s0, s0, vcc_lo
	s_wait_alu 0xfffe
	s_delay_alu instid0(VALU_DEP_1) | instskip(NEXT) | instid1(VALU_DEP_1)
	v_cndmask_b32_e64 v2, v2, 0, s0
	v_or_b32_e32 v6, v2, v10
.LBB14_19:
	s_wait_alu 0xfffe
	s_or_b32 exec_lo, exec_lo, s6
.LBB14_20:
	s_wait_alu 0xfffe
	s_and_not1_saveexec_b32 s0, s2
	s_wait_alu 0xfffe
	s_or_b32 exec_lo, exec_lo, s0
                                        ; implicit-def: $vgpr4_vgpr5
.LBB14_21:
	s_wait_alu 0xfffe
	s_and_not1_saveexec_b32 s0, s3
	s_cbranch_execz .LBB14_23
; %bb.22:
	v_cvt_f32_fp8_e32 v2, v6
	global_store_b32 v[4:5], v2, off
.LBB14_23:
	s_wait_alu 0xfffe
	s_or_b32 exec_lo, exec_lo, s0
	v_and_b32_e32 v2, 0xff, v6
	v_add_co_u32 v0, vcc_lo, s4, v0
	s_wait_alu 0xfffd
	v_add_co_ci_u32_e64 v1, null, s5, v1, vcc_lo
	s_delay_alu instid0(VALU_DEP_3)
	v_cvt_f32_fp8_e32 v2, v2
	global_store_b32 v[0:1], v2, off
.LBB14_24:
	s_endpgm
	.section	.rodata,"a",@progbits
	.p2align	6, 0x0
	.amdhsa_kernel _Z15Type_to_fp8_cvtIdLb1EEvPT_PfS2_m
		.amdhsa_group_segment_fixed_size 0
		.amdhsa_private_segment_fixed_size 0
		.amdhsa_kernarg_size 288
		.amdhsa_user_sgpr_count 2
		.amdhsa_user_sgpr_dispatch_ptr 0
		.amdhsa_user_sgpr_queue_ptr 0
		.amdhsa_user_sgpr_kernarg_segment_ptr 1
		.amdhsa_user_sgpr_dispatch_id 0
		.amdhsa_user_sgpr_private_segment_size 0
		.amdhsa_wavefront_size32 1
		.amdhsa_uses_dynamic_stack 0
		.amdhsa_enable_private_segment 0
		.amdhsa_system_sgpr_workgroup_id_x 1
		.amdhsa_system_sgpr_workgroup_id_y 0
		.amdhsa_system_sgpr_workgroup_id_z 0
		.amdhsa_system_sgpr_workgroup_info 0
		.amdhsa_system_vgpr_workitem_id 0
		.amdhsa_next_free_vgpr 20
		.amdhsa_next_free_sgpr 9
		.amdhsa_reserve_vcc 1
		.amdhsa_float_round_mode_32 0
		.amdhsa_float_round_mode_16_64 0
		.amdhsa_float_denorm_mode_32 3
		.amdhsa_float_denorm_mode_16_64 3
		.amdhsa_fp16_overflow 0
		.amdhsa_workgroup_processor_mode 1
		.amdhsa_memory_ordered 1
		.amdhsa_forward_progress 1
		.amdhsa_inst_pref_size 11
		.amdhsa_round_robin_scheduling 0
		.amdhsa_exception_fp_ieee_invalid_op 0
		.amdhsa_exception_fp_denorm_src 0
		.amdhsa_exception_fp_ieee_div_zero 0
		.amdhsa_exception_fp_ieee_overflow 0
		.amdhsa_exception_fp_ieee_underflow 0
		.amdhsa_exception_fp_ieee_inexact 0
		.amdhsa_exception_int_div_zero 0
	.end_amdhsa_kernel
	.section	.text._Z15Type_to_fp8_cvtIdLb1EEvPT_PfS2_m,"axG",@progbits,_Z15Type_to_fp8_cvtIdLb1EEvPT_PfS2_m,comdat
.Lfunc_end14:
	.size	_Z15Type_to_fp8_cvtIdLb1EEvPT_PfS2_m, .Lfunc_end14-_Z15Type_to_fp8_cvtIdLb1EEvPT_PfS2_m
                                        ; -- End function
	.set _Z15Type_to_fp8_cvtIdLb1EEvPT_PfS2_m.num_vgpr, 20
	.set _Z15Type_to_fp8_cvtIdLb1EEvPT_PfS2_m.num_agpr, 0
	.set _Z15Type_to_fp8_cvtIdLb1EEvPT_PfS2_m.numbered_sgpr, 9
	.set _Z15Type_to_fp8_cvtIdLb1EEvPT_PfS2_m.num_named_barrier, 0
	.set _Z15Type_to_fp8_cvtIdLb1EEvPT_PfS2_m.private_seg_size, 0
	.set _Z15Type_to_fp8_cvtIdLb1EEvPT_PfS2_m.uses_vcc, 1
	.set _Z15Type_to_fp8_cvtIdLb1EEvPT_PfS2_m.uses_flat_scratch, 0
	.set _Z15Type_to_fp8_cvtIdLb1EEvPT_PfS2_m.has_dyn_sized_stack, 0
	.set _Z15Type_to_fp8_cvtIdLb1EEvPT_PfS2_m.has_recursion, 0
	.set _Z15Type_to_fp8_cvtIdLb1EEvPT_PfS2_m.has_indirect_call, 0
	.section	.AMDGPU.csdata,"",@progbits
; Kernel info:
; codeLenInByte = 1368
; TotalNumSgprs: 11
; NumVgprs: 20
; ScratchSize: 0
; MemoryBound: 0
; FloatMode: 240
; IeeeMode: 1
; LDSByteSize: 0 bytes/workgroup (compile time only)
; SGPRBlocks: 0
; VGPRBlocks: 2
; NumSGPRsForWavesPerEU: 11
; NumVGPRsForWavesPerEU: 20
; Occupancy: 16
; WaveLimiterHint : 0
; COMPUTE_PGM_RSRC2:SCRATCH_EN: 0
; COMPUTE_PGM_RSRC2:USER_SGPR: 2
; COMPUTE_PGM_RSRC2:TRAP_HANDLER: 0
; COMPUTE_PGM_RSRC2:TGID_X_EN: 1
; COMPUTE_PGM_RSRC2:TGID_Y_EN: 0
; COMPUTE_PGM_RSRC2:TGID_Z_EN: 0
; COMPUTE_PGM_RSRC2:TIDIG_COMP_CNT: 0
	.section	.text._Z15Type_to_fp8_cvtIdLb0EEvPT_PfS2_m,"axG",@progbits,_Z15Type_to_fp8_cvtIdLb0EEvPT_PfS2_m,comdat
	.protected	_Z15Type_to_fp8_cvtIdLb0EEvPT_PfS2_m ; -- Begin function _Z15Type_to_fp8_cvtIdLb0EEvPT_PfS2_m
	.globl	_Z15Type_to_fp8_cvtIdLb0EEvPT_PfS2_m
	.p2align	8
	.type	_Z15Type_to_fp8_cvtIdLb0EEvPT_PfS2_m,@function
_Z15Type_to_fp8_cvtIdLb0EEvPT_PfS2_m:   ; @_Z15Type_to_fp8_cvtIdLb0EEvPT_PfS2_m
; %bb.0:
	s_clause 0x1
	s_load_b32 s2, s[0:1], 0x2c
	s_load_b256 s[4:11], s[0:1], 0x0
	s_wait_kmcnt 0x0
	s_and_b32 s0, s2, 0xffff
	s_delay_alu instid0(SALU_CYCLE_1) | instskip(SKIP_2) | instid1(VALU_DEP_1)
	v_mad_co_u64_u32 v[4:5], null, ttmp9, s0, v[0:1]
	v_mov_b32_e32 v5, 0
	s_mov_b32 s0, exec_lo
	v_cmpx_gt_u64_e64 s[10:11], v[4:5]
	s_cbranch_execz .LBB15_30
; %bb.1:
	v_lshlrev_b64_e32 v[0:1], 3, v[4:5]
	s_mov_b32 s0, 0
	s_mov_b32 s1, 0x7ff00000
	s_delay_alu instid0(VALU_DEP_1) | instskip(NEXT) | instid1(VALU_DEP_1)
	v_add_co_u32 v0, vcc_lo, s4, v0
	v_add_co_ci_u32_e64 v1, null, s5, v1, vcc_lo
	global_load_b64 v[2:3], v[0:1], off
	s_wait_loadcnt 0x0
	v_dual_mov_b32 v6, v5 :: v_dual_and_b32 v7, 0x7ff00000, v3
	v_lshrrev_b32_e32 v14, 24, v3
	v_dual_mov_b32 v0, v2 :: v_dual_and_b32 v1, 0xfffff, v3
	v_bfe_u32 v13, v3, 20, 11
	s_wait_alu 0xfffe
	v_cmp_ne_u64_e32 vcc_lo, s[0:1], v[6:7]
	v_and_b32_e32 v12, 0x80, v14
	v_and_b32_e32 v7, 0x7fffffff, v3
                                        ; implicit-def: $vgpr6
	s_and_saveexec_b32 s0, vcc_lo
	s_wait_alu 0xfffe
	s_xor_b32 s3, exec_lo, s0
	s_cbranch_execz .LBB15_13
; %bb.2:
	v_mov_b32_e32 v6, v2
	s_mov_b32 s0, 1
	s_mov_b32 s1, 0x40ec0000
	s_wait_alu 0xfffe
	s_delay_alu instid0(VALU_DEP_1)
	v_cmp_gt_u64_e64 s0, s[0:1], v[6:7]
                                        ; implicit-def: $vgpr6
	s_and_saveexec_b32 s1, s0
	s_wait_alu 0xfffe
	s_xor_b32 s4, exec_lo, s1
	s_cbranch_execz .LBB15_10
; %bb.3:
	v_mov_b32_e32 v6, 0
	s_mov_b32 s5, exec_lo
	v_cmpx_ne_u64_e32 0, v[2:3]
	s_cbranch_execz .LBB15_9
; %bb.4:
	v_sub_nc_u32_e64 v6, 0x3f1, v13 clamp
	v_cmp_eq_u32_e64 s0, 0, v13
	v_or_b32_e32 v9, 0x100000, v1
	s_wait_alu 0xf1ff
	s_delay_alu instid0(VALU_DEP_2) | instskip(SKIP_1) | instid1(VALU_DEP_3)
	v_cndmask_b32_e64 v6, v6, 0x3f0, s0
	v_mov_b32_e32 v8, v0
	v_cndmask_b32_e64 v9, v9, v1, s0
	s_delay_alu instid0(VALU_DEP_3) | instskip(SKIP_1) | instid1(VALU_DEP_3)
	v_add_nc_u32_e32 v10, 50, v6
	v_add_nc_u32_e32 v11, 49, v6
	v_lshrrev_b64 v[17:18], v6, v[8:9]
	s_delay_alu instid0(VALU_DEP_3) | instskip(NEXT) | instid1(VALU_DEP_3)
	v_lshlrev_b64_e64 v[15:16], v10, -1
	v_lshlrev_b64_e64 v[19:20], v11, 1
	s_delay_alu instid0(VALU_DEP_3) | instskip(NEXT) | instid1(VALU_DEP_3)
	v_dual_mov_b32 v10, 0 :: v_dual_and_b32 v11, 0x40000, v18
	v_bfi_b32 v9, v16, 0, v9
	s_delay_alu instid0(VALU_DEP_4) | instskip(NEXT) | instid1(VALU_DEP_3)
	v_bfi_b32 v8, v15, 0, v0
	v_cmp_eq_u64_e64 s1, 0, v[10:11]
	v_lshrrev_b32_e32 v11, 20, v18
	s_delay_alu instid0(VALU_DEP_3) | instskip(SKIP_1) | instid1(VALU_DEP_1)
	v_cmp_eq_u64_e64 s2, v[8:9], v[19:20]
	v_add_nc_u32_e32 v8, 0xfffffc10, v13
	v_cndmask_b32_e64 v8, v8, 0xfffffc11, s0
	s_and_b32 s1, s1, s2
	s_wait_alu 0xfffe
	v_cndmask_b32_e64 v9, 0, 1, s1
	s_mov_b32 s1, exec_lo
	v_add3_u32 v15, v8, v6, v11
	s_delay_alu instid0(VALU_DEP_2) | instskip(SKIP_2) | instid1(VALU_DEP_2)
	v_sub_co_u32 v9, s0, v17, v9
	s_wait_alu 0xf1ff
	v_subrev_co_ci_u32_e64 v16, null, 0, v18, s0
	v_add_co_u32 v8, s0, v9, v17
	s_delay_alu instid0(VALU_DEP_2) | instskip(SKIP_2) | instid1(VALU_DEP_2)
	v_and_b32_e32 v6, 0x3ffff, v16
	v_add_nc_u32_e32 v16, -1, v15
	s_wait_alu 0xf1ff
	v_add_co_ci_u32_e64 v9, null, v6, v18, s0
                                        ; implicit-def: $vgpr6
	s_delay_alu instid0(VALU_DEP_2)
	v_cmpx_ne_u32_e32 0, v16
	s_wait_alu 0xfffe
	s_xor_b32 s1, exec_lo, s1
; %bb.5:
	s_delay_alu instid0(VALU_DEP_2) | instskip(SKIP_1) | instid1(VALU_DEP_2)
	v_and_b32_e32 v11, 0x200000, v9
	v_bfe_u32 v6, v9, 21, 1
	v_cmp_eq_u64_e64 s0, 0, v[10:11]
	s_delay_alu instid0(VALU_DEP_2) | instskip(SKIP_1) | instid1(VALU_DEP_2)
	v_lshrrev_b64 v[8:9], v6, v[8:9]
	s_wait_alu 0xf1ff
	v_cndmask_b32_e64 v6, v15, v16, s0
; %bb.6:
	s_wait_alu 0xfffe
	s_and_not1_saveexec_b32 s0, s1
; %bb.7:
	s_delay_alu instid0(VALU_DEP_2)
	v_bfe_u32 v6, v9, 20, 1
; %bb.8:
	s_wait_alu 0xfffe
	s_or_b32 exec_lo, exec_lo, s0
	v_lshrrev_b32_e32 v8, 18, v9
	s_delay_alu instid0(VALU_DEP_2)
	v_cmp_gt_i32_e64 s0, 32, v6
	v_min_i32_e32 v10, 31, v6
	v_mov_b32_e32 v9, 0
	v_cmp_eq_u32_e64 s1, 0, v6
	s_wait_alu 0xf1ff
	v_cndmask_b32_e64 v8, 3, v8, s0
	v_lshlrev_b32_e32 v10, 2, v10
	s_delay_alu instid0(VALU_DEP_2) | instskip(NEXT) | instid1(VALU_DEP_2)
	v_cmp_eq_u64_e64 s0, 0, v[8:9]
	v_and_or_b32 v6, v8, 3, v10
	s_and_b32 s0, s1, s0
	s_wait_alu 0xfffe
	s_delay_alu instid0(VALU_DEP_1) | instskip(NEXT) | instid1(VALU_DEP_1)
	v_cndmask_b32_e64 v6, v6, 0, s0
	v_or_b32_e32 v6, v6, v12
.LBB15_9:
	s_wait_alu 0xfffe
	s_or_b32 exec_lo, exec_lo, s5
.LBB15_10:
	s_wait_alu 0xfffe
	s_and_not1_saveexec_b32 s0, s4
; %bb.11:
	v_or_b32_e32 v6, 0x7b, v12
; %bb.12:
	s_wait_alu 0xfffe
	s_or_b32 exec_lo, exec_lo, s0
.LBB15_13:
	s_and_not1_saveexec_b32 s1, s3
; %bb.14:
	v_cmp_lt_i64_e64 s0, -1, v[2:3]
	v_mov_b32_e32 v6, 0x7c
	s_wait_alu 0xf1ff
	s_delay_alu instid0(VALU_DEP_1) | instskip(SKIP_2) | instid1(VALU_DEP_1)
	v_cndmask_b32_e64 v6, 0xfc, v6, s0
	v_cmp_eq_u64_e64 s0, 0, v[0:1]
	s_wait_alu 0xf1ff
	v_cndmask_b32_e64 v6, v14, v6, s0
; %bb.15:
	s_wait_alu 0xfffe
	s_or_b32 exec_lo, exec_lo, s1
	v_lshlrev_b64_e32 v[4:5], 2, v[4:5]
	s_delay_alu instid0(VALU_DEP_2) | instskip(NEXT) | instid1(VALU_DEP_1)
	v_and_b32_e32 v6, 0xff, v6
	v_cvt_f32_bf8_e32 v6, v6
	s_delay_alu instid0(VALU_DEP_3) | instskip(SKIP_1) | instid1(VALU_DEP_4)
	v_add_co_u32 v8, s0, s6, v4
	s_wait_alu 0xf1ff
	v_add_co_ci_u32_e64 v9, null, s7, v5, s0
	global_store_b32 v[8:9], v6, off
                                        ; implicit-def: $vgpr6
	s_and_saveexec_b32 s0, vcc_lo
	s_wait_alu 0xfffe
	s_xor_b32 s2, exec_lo, s0
	s_cbranch_execz .LBB15_27
; %bb.16:
	v_mov_b32_e32 v6, v2
	s_mov_b32 s0, 1
	s_mov_b32 s1, 0x40ec0000
	s_wait_alu 0xfffe
	s_delay_alu instid0(VALU_DEP_1)
	v_cmp_gt_u64_e32 vcc_lo, s[0:1], v[6:7]
                                        ; implicit-def: $vgpr6
	s_and_saveexec_b32 s0, vcc_lo
	s_wait_alu 0xfffe
	s_xor_b32 s3, exec_lo, s0
	s_cbranch_execz .LBB15_24
; %bb.17:
	v_mov_b32_e32 v6, 0
	s_mov_b32 s4, exec_lo
	v_cmpx_ne_u64_e32 0, v[2:3]
	s_cbranch_execz .LBB15_23
; %bb.18:
	v_sub_nc_u32_e64 v2, 0x3f1, v13 clamp
	v_cmp_eq_u32_e32 vcc_lo, 0, v13
	v_or_b32_e32 v3, 0x100000, v1
	s_wait_alu 0xfffd
	s_delay_alu instid0(VALU_DEP_3) | instskip(NEXT) | instid1(VALU_DEP_1)
	v_cndmask_b32_e64 v14, v2, 0x3f0, vcc_lo
	v_dual_cndmask_b32 v1, v3, v1 :: v_dual_add_nc_u32 v2, 50, v14
	v_add_nc_u32_e32 v3, 49, v14
	s_delay_alu instid0(VALU_DEP_2) | instskip(NEXT) | instid1(VALU_DEP_3)
	v_lshrrev_b64 v[8:9], v14, v[0:1]
	v_lshlrev_b64_e64 v[6:7], v2, -1
	v_mov_b32_e32 v2, 0
	s_delay_alu instid0(VALU_DEP_4) | instskip(NEXT) | instid1(VALU_DEP_4)
	v_lshlrev_b64_e64 v[10:11], v3, 1
	v_and_b32_e32 v3, 0x40000, v9
	s_delay_alu instid0(VALU_DEP_4) | instskip(SKIP_1) | instid1(VALU_DEP_3)
	v_bfi_b32 v1, v7, 0, v1
	v_bfi_b32 v0, v6, 0, v0
	v_cmp_eq_u64_e64 s0, 0, v[2:3]
	v_lshrrev_b32_e32 v3, 20, v9
	s_delay_alu instid0(VALU_DEP_3) | instskip(SKIP_1) | instid1(VALU_DEP_1)
	v_cmp_eq_u64_e64 s1, v[0:1], v[10:11]
	v_add_nc_u32_e32 v0, 0xfffffc10, v13
	v_cndmask_b32_e64 v0, v0, 0xfffffc11, vcc_lo
	s_and_b32 s0, s0, s1
	s_wait_alu 0xfffe
	v_cndmask_b32_e64 v1, 0, 1, s0
	s_mov_b32 s0, exec_lo
	v_add3_u32 v6, v0, v14, v3
	s_delay_alu instid0(VALU_DEP_2) | instskip(SKIP_2) | instid1(VALU_DEP_2)
	v_sub_co_u32 v1, vcc_lo, v8, v1
	s_wait_alu 0xfffd
	v_subrev_co_ci_u32_e64 v7, null, 0, v9, vcc_lo
	v_add_co_u32 v0, vcc_lo, v1, v8
	s_delay_alu instid0(VALU_DEP_2) | instskip(SKIP_2) | instid1(VALU_DEP_2)
	v_and_b32_e32 v3, 0x3ffff, v7
	v_add_nc_u32_e32 v7, -1, v6
	s_wait_alu 0xfffd
	v_add_co_ci_u32_e64 v1, null, v3, v9, vcc_lo
                                        ; implicit-def: $vgpr3
	s_delay_alu instid0(VALU_DEP_2)
	v_cmpx_ne_u32_e32 0, v7
	s_wait_alu 0xfffe
	s_xor_b32 s0, exec_lo, s0
; %bb.19:
	s_delay_alu instid0(VALU_DEP_2) | instskip(SKIP_1) | instid1(VALU_DEP_2)
	v_and_b32_e32 v3, 0x200000, v1
	v_bfe_u32 v8, v1, 21, 1
	v_cmp_eq_u64_e32 vcc_lo, 0, v[2:3]
	s_delay_alu instid0(VALU_DEP_2)
	v_lshrrev_b64 v[0:1], v8, v[0:1]
	s_wait_alu 0xfffd
	v_cndmask_b32_e32 v3, v6, v7, vcc_lo
; %bb.20:
	s_wait_alu 0xfffe
	s_and_not1_saveexec_b32 s0, s0
; %bb.21:
	s_delay_alu instid0(VALU_DEP_2)
	v_bfe_u32 v3, v1, 20, 1
; %bb.22:
	s_wait_alu 0xfffe
	s_or_b32 exec_lo, exec_lo, s0
	v_lshrrev_b32_e32 v0, 18, v1
	s_delay_alu instid0(VALU_DEP_2)
	v_cmp_gt_i32_e32 vcc_lo, 32, v3
	v_min_i32_e32 v2, 31, v3
	v_mov_b32_e32 v1, 0
	v_cmp_eq_u32_e64 s0, 0, v3
	s_wait_alu 0xfffd
	v_cndmask_b32_e32 v0, 3, v0, vcc_lo
	v_lshlrev_b32_e32 v2, 2, v2
	s_delay_alu instid0(VALU_DEP_2) | instskip(NEXT) | instid1(VALU_DEP_2)
	v_cmp_eq_u64_e32 vcc_lo, 0, v[0:1]
	v_and_or_b32 v0, v0, 3, v2
	s_and_b32 s0, s0, vcc_lo
	s_wait_alu 0xfffe
	s_delay_alu instid0(VALU_DEP_1) | instskip(NEXT) | instid1(VALU_DEP_1)
	v_cndmask_b32_e64 v0, v0, 0, s0
	v_or_b32_e32 v6, v0, v12
.LBB15_23:
	s_wait_alu 0xfffe
	s_or_b32 exec_lo, exec_lo, s4
                                        ; implicit-def: $vgpr12
.LBB15_24:
	s_and_not1_saveexec_b32 s0, s3
; %bb.25:
	v_or_b32_e32 v6, 0x7b, v12
; %bb.26:
	s_wait_alu 0xfffe
	s_or_b32 exec_lo, exec_lo, s0
                                        ; implicit-def: $vgpr0_vgpr1
                                        ; implicit-def: $vgpr2_vgpr3
                                        ; implicit-def: $vgpr14
.LBB15_27:
	s_and_not1_saveexec_b32 s0, s2
; %bb.28:
	v_cmp_lt_i64_e32 vcc_lo, -1, v[2:3]
	v_mov_b32_e32 v6, 0x7c
	s_wait_alu 0xfffd
	s_delay_alu instid0(VALU_DEP_1) | instskip(SKIP_2) | instid1(VALU_DEP_2)
	v_cndmask_b32_e32 v2, 0xfc, v6, vcc_lo
	v_cmp_eq_u64_e32 vcc_lo, 0, v[0:1]
	s_wait_alu 0xfffd
	v_cndmask_b32_e32 v6, v14, v2, vcc_lo
; %bb.29:
	s_wait_alu 0xfffe
	s_or_b32 exec_lo, exec_lo, s0
	s_delay_alu instid0(VALU_DEP_1) | instskip(SKIP_3) | instid1(VALU_DEP_3)
	v_and_b32_e32 v2, 0xff, v6
	v_add_co_u32 v0, vcc_lo, s8, v4
	s_wait_alu 0xfffd
	v_add_co_ci_u32_e64 v1, null, s9, v5, vcc_lo
	v_cvt_f32_bf8_e32 v2, v2
	global_store_b32 v[0:1], v2, off
.LBB15_30:
	s_endpgm
	.section	.rodata,"a",@progbits
	.p2align	6, 0x0
	.amdhsa_kernel _Z15Type_to_fp8_cvtIdLb0EEvPT_PfS2_m
		.amdhsa_group_segment_fixed_size 0
		.amdhsa_private_segment_fixed_size 0
		.amdhsa_kernarg_size 288
		.amdhsa_user_sgpr_count 2
		.amdhsa_user_sgpr_dispatch_ptr 0
		.amdhsa_user_sgpr_queue_ptr 0
		.amdhsa_user_sgpr_kernarg_segment_ptr 1
		.amdhsa_user_sgpr_dispatch_id 0
		.amdhsa_user_sgpr_private_segment_size 0
		.amdhsa_wavefront_size32 1
		.amdhsa_uses_dynamic_stack 0
		.amdhsa_enable_private_segment 0
		.amdhsa_system_sgpr_workgroup_id_x 1
		.amdhsa_system_sgpr_workgroup_id_y 0
		.amdhsa_system_sgpr_workgroup_id_z 0
		.amdhsa_system_sgpr_workgroup_info 0
		.amdhsa_system_vgpr_workitem_id 0
		.amdhsa_next_free_vgpr 21
		.amdhsa_next_free_sgpr 12
		.amdhsa_reserve_vcc 1
		.amdhsa_float_round_mode_32 0
		.amdhsa_float_round_mode_16_64 0
		.amdhsa_float_denorm_mode_32 3
		.amdhsa_float_denorm_mode_16_64 3
		.amdhsa_fp16_overflow 0
		.amdhsa_workgroup_processor_mode 1
		.amdhsa_memory_ordered 1
		.amdhsa_forward_progress 1
		.amdhsa_inst_pref_size 12
		.amdhsa_round_robin_scheduling 0
		.amdhsa_exception_fp_ieee_invalid_op 0
		.amdhsa_exception_fp_denorm_src 0
		.amdhsa_exception_fp_ieee_div_zero 0
		.amdhsa_exception_fp_ieee_overflow 0
		.amdhsa_exception_fp_ieee_underflow 0
		.amdhsa_exception_fp_ieee_inexact 0
		.amdhsa_exception_int_div_zero 0
	.end_amdhsa_kernel
	.section	.text._Z15Type_to_fp8_cvtIdLb0EEvPT_PfS2_m,"axG",@progbits,_Z15Type_to_fp8_cvtIdLb0EEvPT_PfS2_m,comdat
.Lfunc_end15:
	.size	_Z15Type_to_fp8_cvtIdLb0EEvPT_PfS2_m, .Lfunc_end15-_Z15Type_to_fp8_cvtIdLb0EEvPT_PfS2_m
                                        ; -- End function
	.set _Z15Type_to_fp8_cvtIdLb0EEvPT_PfS2_m.num_vgpr, 21
	.set _Z15Type_to_fp8_cvtIdLb0EEvPT_PfS2_m.num_agpr, 0
	.set _Z15Type_to_fp8_cvtIdLb0EEvPT_PfS2_m.numbered_sgpr, 12
	.set _Z15Type_to_fp8_cvtIdLb0EEvPT_PfS2_m.num_named_barrier, 0
	.set _Z15Type_to_fp8_cvtIdLb0EEvPT_PfS2_m.private_seg_size, 0
	.set _Z15Type_to_fp8_cvtIdLb0EEvPT_PfS2_m.uses_vcc, 1
	.set _Z15Type_to_fp8_cvtIdLb0EEvPT_PfS2_m.uses_flat_scratch, 0
	.set _Z15Type_to_fp8_cvtIdLb0EEvPT_PfS2_m.has_dyn_sized_stack, 0
	.set _Z15Type_to_fp8_cvtIdLb0EEvPT_PfS2_m.has_recursion, 0
	.set _Z15Type_to_fp8_cvtIdLb0EEvPT_PfS2_m.has_indirect_call, 0
	.section	.AMDGPU.csdata,"",@progbits
; Kernel info:
; codeLenInByte = 1496
; TotalNumSgprs: 14
; NumVgprs: 21
; ScratchSize: 0
; MemoryBound: 0
; FloatMode: 240
; IeeeMode: 1
; LDSByteSize: 0 bytes/workgroup (compile time only)
; SGPRBlocks: 0
; VGPRBlocks: 2
; NumSGPRsForWavesPerEU: 14
; NumVGPRsForWavesPerEU: 21
; Occupancy: 16
; WaveLimiterHint : 0
; COMPUTE_PGM_RSRC2:SCRATCH_EN: 0
; COMPUTE_PGM_RSRC2:USER_SGPR: 2
; COMPUTE_PGM_RSRC2:TRAP_HANDLER: 0
; COMPUTE_PGM_RSRC2:TGID_X_EN: 1
; COMPUTE_PGM_RSRC2:TGID_Y_EN: 0
; COMPUTE_PGM_RSRC2:TGID_Z_EN: 0
; COMPUTE_PGM_RSRC2:TIDIG_COMP_CNT: 0
	.section	.AMDGPU.gpr_maximums,"",@progbits
	.set amdgpu.max_num_vgpr, 0
	.set amdgpu.max_num_agpr, 0
	.set amdgpu.max_num_sgpr, 0
	.section	.AMDGPU.csdata,"",@progbits
	.type	__hip_cuid_925a3917ff7f1c9,@object ; @__hip_cuid_925a3917ff7f1c9
	.section	.bss,"aw",@nobits
	.globl	__hip_cuid_925a3917ff7f1c9
__hip_cuid_925a3917ff7f1c9:
	.byte	0                               ; 0x0
	.size	__hip_cuid_925a3917ff7f1c9, 1

	.ident	"AMD clang version 22.0.0git (https://github.com/RadeonOpenCompute/llvm-project roc-7.2.4 26084 f58b06dce1f9c15707c5f808fd002e18c2accf7e)"
	.section	".note.GNU-stack","",@progbits
	.addrsig
	.addrsig_sym __hip_cuid_925a3917ff7f1c9
	.amdgpu_metadata
---
amdhsa.kernels:
  - .args:
      - .address_space:  global
        .offset:         0
        .size:           8
        .value_kind:     global_buffer
      - .offset:         8
        .size:           8
        .value_kind:     by_value
    .group_segment_fixed_size: 0
    .kernarg_segment_align: 8
    .kernarg_segment_size: 16
    .language:       OpenCL C
    .language_version:
      - 2
      - 0
    .max_flat_workgroup_size: 1024
    .name:           _Z19cvt_float_fp8_floatIfLb1EEvPT_m
    .private_segment_fixed_size: 0
    .sgpr_count:     6
    .sgpr_spill_count: 0
    .symbol:         _Z19cvt_float_fp8_floatIfLb1EEvPT_m.kd
    .uniform_work_group_size: 1
    .uses_dynamic_stack: false
    .vgpr_count:     4
    .vgpr_spill_count: 0
    .wavefront_size: 32
    .workgroup_processor_mode: 1
  - .args:
      - .address_space:  global
        .offset:         0
        .size:           8
        .value_kind:     global_buffer
      - .offset:         8
        .size:           8
        .value_kind:     by_value
    .group_segment_fixed_size: 0
    .kernarg_segment_align: 8
    .kernarg_segment_size: 16
    .language:       OpenCL C
    .language_version:
      - 2
      - 0
    .max_flat_workgroup_size: 1024
    .name:           _Z19cvt_float_fp8_floatIfLb0EEvPT_m
    .private_segment_fixed_size: 0
    .sgpr_count:     6
    .sgpr_spill_count: 0
    .symbol:         _Z19cvt_float_fp8_floatIfLb0EEvPT_m.kd
    .uniform_work_group_size: 1
    .uses_dynamic_stack: false
    .vgpr_count:     4
    .vgpr_spill_count: 0
    .wavefront_size: 32
    .workgroup_processor_mode: 1
  - .args:
      - .address_space:  global
        .offset:         0
        .size:           8
        .value_kind:     global_buffer
      - .offset:         8
        .size:           8
        .value_kind:     by_value
    .group_segment_fixed_size: 0
    .kernarg_segment_align: 8
    .kernarg_segment_size: 16
    .language:       OpenCL C
    .language_version:
      - 2
      - 0
    .max_flat_workgroup_size: 1024
    .name:           _Z19cvt_float_fp8_floatIdLb1EEvPT_m
    .private_segment_fixed_size: 0
    .sgpr_count:     10
    .sgpr_spill_count: 0
    .symbol:         _Z19cvt_float_fp8_floatIdLb1EEvPT_m.kd
    .uniform_work_group_size: 1
    .uses_dynamic_stack: false
    .vgpr_count:     14
    .vgpr_spill_count: 0
    .wavefront_size: 32
    .workgroup_processor_mode: 1
  - .args:
      - .address_space:  global
        .offset:         0
        .size:           8
        .value_kind:     global_buffer
      - .offset:         8
        .size:           8
        .value_kind:     by_value
    .group_segment_fixed_size: 0
    .kernarg_segment_align: 8
    .kernarg_segment_size: 16
    .language:       OpenCL C
    .language_version:
      - 2
      - 0
    .max_flat_workgroup_size: 1024
    .name:           _Z19cvt_float_fp8_floatIdLb0EEvPT_m
    .private_segment_fixed_size: 0
    .sgpr_count:     10
    .sgpr_spill_count: 0
    .symbol:         _Z19cvt_float_fp8_floatIdLb0EEvPT_m.kd
    .uniform_work_group_size: 1
    .uses_dynamic_stack: false
    .vgpr_count:     14
    .vgpr_spill_count: 0
    .wavefront_size: 32
    .workgroup_processor_mode: 1
  - .args:
      - .address_space:  global
        .offset:         0
        .size:           8
        .value_kind:     global_buffer
      - .offset:         8
        .size:           8
        .value_kind:     by_value
    .group_segment_fixed_size: 0
    .kernarg_segment_align: 8
    .kernarg_segment_size: 16
    .language:       OpenCL C
    .language_version:
      - 2
      - 0
    .max_flat_workgroup_size: 1024
    .name:           _Z23cvt_float2_fp8x2_float2ILb1EEvP15HIP_vector_typeIfLj2EEm
    .private_segment_fixed_size: 0
    .sgpr_count:     6
    .sgpr_spill_count: 0
    .symbol:         _Z23cvt_float2_fp8x2_float2ILb1EEvP15HIP_vector_typeIfLj2EEm.kd
    .uniform_work_group_size: 1
    .uses_dynamic_stack: false
    .vgpr_count:     5
    .vgpr_spill_count: 0
    .wavefront_size: 32
    .workgroup_processor_mode: 1
  - .args:
      - .address_space:  global
        .offset:         0
        .size:           8
        .value_kind:     global_buffer
      - .offset:         8
        .size:           8
        .value_kind:     by_value
    .group_segment_fixed_size: 0
    .kernarg_segment_align: 8
    .kernarg_segment_size: 16
    .language:       OpenCL C
    .language_version:
      - 2
      - 0
    .max_flat_workgroup_size: 1024
    .name:           _Z23cvt_float2_fp8x2_float2ILb0EEvP15HIP_vector_typeIfLj2EEm
    .private_segment_fixed_size: 0
    .sgpr_count:     6
    .sgpr_spill_count: 0
    .symbol:         _Z23cvt_float2_fp8x2_float2ILb0EEvP15HIP_vector_typeIfLj2EEm.kd
    .uniform_work_group_size: 1
    .uses_dynamic_stack: false
    .vgpr_count:     5
    .vgpr_spill_count: 0
    .wavefront_size: 32
    .workgroup_processor_mode: 1
  - .args:
      - .address_space:  global
        .offset:         0
        .size:           8
        .value_kind:     global_buffer
      - .offset:         8
        .size:           8
        .value_kind:     by_value
    .group_segment_fixed_size: 0
    .kernarg_segment_align: 8
    .kernarg_segment_size: 16
    .language:       OpenCL C
    .language_version:
      - 2
      - 0
    .max_flat_workgroup_size: 1024
    .name:           _Z23cvt_float4_fp8x4_float4ILb1EEvP15HIP_vector_typeIfLj4EEm
    .private_segment_fixed_size: 0
    .sgpr_count:     6
    .sgpr_spill_count: 0
    .symbol:         _Z23cvt_float4_fp8x4_float4ILb1EEvP15HIP_vector_typeIfLj4EEm.kd
    .uniform_work_group_size: 1
    .uses_dynamic_stack: false
    .vgpr_count:     12
    .vgpr_spill_count: 0
    .wavefront_size: 32
    .workgroup_processor_mode: 1
  - .args:
      - .address_space:  global
        .offset:         0
        .size:           8
        .value_kind:     global_buffer
      - .offset:         8
        .size:           8
        .value_kind:     by_value
    .group_segment_fixed_size: 0
    .kernarg_segment_align: 8
    .kernarg_segment_size: 16
    .language:       OpenCL C
    .language_version:
      - 2
      - 0
    .max_flat_workgroup_size: 1024
    .name:           _Z23cvt_float4_fp8x4_float4ILb0EEvP15HIP_vector_typeIfLj4EEm
    .private_segment_fixed_size: 0
    .sgpr_count:     6
    .sgpr_spill_count: 0
    .symbol:         _Z23cvt_float4_fp8x4_float4ILb0EEvP15HIP_vector_typeIfLj4EEm.kd
    .uniform_work_group_size: 1
    .uses_dynamic_stack: false
    .vgpr_count:     12
    .vgpr_spill_count: 0
    .wavefront_size: 32
    .workgroup_processor_mode: 1
  - .args:
      - .address_space:  global
        .offset:         0
        .size:           8
        .value_kind:     global_buffer
      - .address_space:  global
        .offset:         8
        .size:           8
        .value_kind:     global_buffer
      - .offset:         16
        .size:           8
        .value_kind:     by_value
    .group_segment_fixed_size: 0
    .kernarg_segment_align: 8
    .kernarg_segment_size: 24
    .language:       OpenCL C
    .language_version:
      - 2
      - 0
    .max_flat_workgroup_size: 1024
    .name:           _Z10fp8_2_boolILb1EEvPfPbm
    .private_segment_fixed_size: 0
    .sgpr_count:     6
    .sgpr_spill_count: 0
    .symbol:         _Z10fp8_2_boolILb1EEvPfPbm.kd
    .uniform_work_group_size: 1
    .uses_dynamic_stack: false
    .vgpr_count:     4
    .vgpr_spill_count: 0
    .wavefront_size: 32
    .workgroup_processor_mode: 1
  - .args:
      - .address_space:  global
        .offset:         0
        .size:           8
        .value_kind:     global_buffer
      - .address_space:  global
        .offset:         8
        .size:           8
        .value_kind:     global_buffer
      - .offset:         16
        .size:           8
        .value_kind:     by_value
    .group_segment_fixed_size: 0
    .kernarg_segment_align: 8
    .kernarg_segment_size: 24
    .language:       OpenCL C
    .language_version:
      - 2
      - 0
    .max_flat_workgroup_size: 1024
    .name:           _Z10fp8_2_boolILb0EEvPfPbm
    .private_segment_fixed_size: 0
    .sgpr_count:     6
    .sgpr_spill_count: 0
    .symbol:         _Z10fp8_2_boolILb0EEvPfPbm.kd
    .uniform_work_group_size: 1
    .uses_dynamic_stack: false
    .vgpr_count:     4
    .vgpr_spill_count: 0
    .wavefront_size: 32
    .workgroup_processor_mode: 1
  - .args:
      - .address_space:  global
        .offset:         0
        .size:           8
        .value_kind:     global_buffer
      - .address_space:  global
        .offset:         8
        .size:           8
        .value_kind:     global_buffer
      - .offset:         16
        .size:           8
        .value_kind:     by_value
      - .offset:         24
        .size:           4
        .value_kind:     hidden_block_count_x
      - .offset:         28
        .size:           4
        .value_kind:     hidden_block_count_y
      - .offset:         32
        .size:           4
        .value_kind:     hidden_block_count_z
      - .offset:         36
        .size:           2
        .value_kind:     hidden_group_size_x
      - .offset:         38
        .size:           2
        .value_kind:     hidden_group_size_y
      - .offset:         40
        .size:           2
        .value_kind:     hidden_group_size_z
      - .offset:         42
        .size:           2
        .value_kind:     hidden_remainder_x
      - .offset:         44
        .size:           2
        .value_kind:     hidden_remainder_y
      - .offset:         46
        .size:           2
        .value_kind:     hidden_remainder_z
      - .offset:         64
        .size:           8
        .value_kind:     hidden_global_offset_x
      - .offset:         72
        .size:           8
        .value_kind:     hidden_global_offset_y
      - .offset:         80
        .size:           8
        .value_kind:     hidden_global_offset_z
      - .offset:         88
        .size:           2
        .value_kind:     hidden_grid_dims
    .group_segment_fixed_size: 0
    .kernarg_segment_align: 8
    .kernarg_segment_size: 280
    .language:       OpenCL C
    .language_version:
      - 2
      - 0
    .max_flat_workgroup_size: 1024
    .name:           _Z11Type_to_fp8ILb1EEvPfPhm
    .private_segment_fixed_size: 0
    .sgpr_count:     7
    .sgpr_spill_count: 0
    .symbol:         _Z11Type_to_fp8ILb1EEvPfPhm.kd
    .uniform_work_group_size: 1
    .uses_dynamic_stack: false
    .vgpr_count:     4
    .vgpr_spill_count: 0
    .wavefront_size: 32
    .workgroup_processor_mode: 1
  - .args:
      - .address_space:  global
        .offset:         0
        .size:           8
        .value_kind:     global_buffer
      - .address_space:  global
        .offset:         8
        .size:           8
        .value_kind:     global_buffer
      - .offset:         16
        .size:           8
        .value_kind:     by_value
      - .offset:         24
        .size:           4
        .value_kind:     hidden_block_count_x
      - .offset:         28
        .size:           4
        .value_kind:     hidden_block_count_y
      - .offset:         32
        .size:           4
        .value_kind:     hidden_block_count_z
      - .offset:         36
        .size:           2
        .value_kind:     hidden_group_size_x
      - .offset:         38
        .size:           2
        .value_kind:     hidden_group_size_y
      - .offset:         40
        .size:           2
        .value_kind:     hidden_group_size_z
      - .offset:         42
        .size:           2
        .value_kind:     hidden_remainder_x
      - .offset:         44
        .size:           2
        .value_kind:     hidden_remainder_y
      - .offset:         46
        .size:           2
        .value_kind:     hidden_remainder_z
      - .offset:         64
        .size:           8
        .value_kind:     hidden_global_offset_x
      - .offset:         72
        .size:           8
        .value_kind:     hidden_global_offset_y
      - .offset:         80
        .size:           8
        .value_kind:     hidden_global_offset_z
      - .offset:         88
        .size:           2
        .value_kind:     hidden_grid_dims
    .group_segment_fixed_size: 0
    .kernarg_segment_align: 8
    .kernarg_segment_size: 280
    .language:       OpenCL C
    .language_version:
      - 2
      - 0
    .max_flat_workgroup_size: 1024
    .name:           _Z11Type_to_fp8ILb0EEvPfPhm
    .private_segment_fixed_size: 0
    .sgpr_count:     7
    .sgpr_spill_count: 0
    .symbol:         _Z11Type_to_fp8ILb0EEvPfPhm.kd
    .uniform_work_group_size: 1
    .uses_dynamic_stack: false
    .vgpr_count:     4
    .vgpr_spill_count: 0
    .wavefront_size: 32
    .workgroup_processor_mode: 1
  - .args:
      - .address_space:  global
        .offset:         0
        .size:           8
        .value_kind:     global_buffer
      - .address_space:  global
        .offset:         8
        .size:           8
        .value_kind:     global_buffer
      - .address_space:  global
        .offset:         16
        .size:           8
        .value_kind:     global_buffer
      - .offset:         24
        .size:           8
        .value_kind:     by_value
      - .offset:         32
        .size:           4
        .value_kind:     hidden_block_count_x
      - .offset:         36
        .size:           4
        .value_kind:     hidden_block_count_y
      - .offset:         40
        .size:           4
        .value_kind:     hidden_block_count_z
      - .offset:         44
        .size:           2
        .value_kind:     hidden_group_size_x
      - .offset:         46
        .size:           2
        .value_kind:     hidden_group_size_y
      - .offset:         48
        .size:           2
        .value_kind:     hidden_group_size_z
      - .offset:         50
        .size:           2
        .value_kind:     hidden_remainder_x
      - .offset:         52
        .size:           2
        .value_kind:     hidden_remainder_y
      - .offset:         54
        .size:           2
        .value_kind:     hidden_remainder_z
      - .offset:         72
        .size:           8
        .value_kind:     hidden_global_offset_x
      - .offset:         80
        .size:           8
        .value_kind:     hidden_global_offset_y
      - .offset:         88
        .size:           8
        .value_kind:     hidden_global_offset_z
      - .offset:         96
        .size:           2
        .value_kind:     hidden_grid_dims
    .group_segment_fixed_size: 0
    .kernarg_segment_align: 8
    .kernarg_segment_size: 288
    .language:       OpenCL C
    .language_version:
      - 2
      - 0
    .max_flat_workgroup_size: 1024
    .name:           _Z15Type_to_fp8_cvtIfLb1EEvPT_PfS2_m
    .private_segment_fixed_size: 0
    .sgpr_count:     11
    .sgpr_spill_count: 0
    .symbol:         _Z15Type_to_fp8_cvtIfLb1EEvPT_PfS2_m.kd
    .uniform_work_group_size: 1
    .uses_dynamic_stack: false
    .vgpr_count:     6
    .vgpr_spill_count: 0
    .wavefront_size: 32
    .workgroup_processor_mode: 1
  - .args:
      - .address_space:  global
        .offset:         0
        .size:           8
        .value_kind:     global_buffer
      - .address_space:  global
        .offset:         8
        .size:           8
        .value_kind:     global_buffer
      - .address_space:  global
        .offset:         16
        .size:           8
        .value_kind:     global_buffer
      - .offset:         24
        .size:           8
        .value_kind:     by_value
      - .offset:         32
        .size:           4
        .value_kind:     hidden_block_count_x
      - .offset:         36
        .size:           4
        .value_kind:     hidden_block_count_y
      - .offset:         40
        .size:           4
        .value_kind:     hidden_block_count_z
      - .offset:         44
        .size:           2
        .value_kind:     hidden_group_size_x
      - .offset:         46
        .size:           2
        .value_kind:     hidden_group_size_y
      - .offset:         48
        .size:           2
        .value_kind:     hidden_group_size_z
      - .offset:         50
        .size:           2
        .value_kind:     hidden_remainder_x
      - .offset:         52
        .size:           2
        .value_kind:     hidden_remainder_y
      - .offset:         54
        .size:           2
        .value_kind:     hidden_remainder_z
      - .offset:         72
        .size:           8
        .value_kind:     hidden_global_offset_x
      - .offset:         80
        .size:           8
        .value_kind:     hidden_global_offset_y
      - .offset:         88
        .size:           8
        .value_kind:     hidden_global_offset_z
      - .offset:         96
        .size:           2
        .value_kind:     hidden_grid_dims
    .group_segment_fixed_size: 0
    .kernarg_segment_align: 8
    .kernarg_segment_size: 288
    .language:       OpenCL C
    .language_version:
      - 2
      - 0
    .max_flat_workgroup_size: 1024
    .name:           _Z15Type_to_fp8_cvtIfLb0EEvPT_PfS2_m
    .private_segment_fixed_size: 0
    .sgpr_count:     11
    .sgpr_spill_count: 0
    .symbol:         _Z15Type_to_fp8_cvtIfLb0EEvPT_PfS2_m.kd
    .uniform_work_group_size: 1
    .uses_dynamic_stack: false
    .vgpr_count:     6
    .vgpr_spill_count: 0
    .wavefront_size: 32
    .workgroup_processor_mode: 1
  - .args:
      - .address_space:  global
        .offset:         0
        .size:           8
        .value_kind:     global_buffer
      - .address_space:  global
        .offset:         8
        .size:           8
        .value_kind:     global_buffer
      - .address_space:  global
        .offset:         16
        .size:           8
        .value_kind:     global_buffer
      - .offset:         24
        .size:           8
        .value_kind:     by_value
      - .offset:         32
        .size:           4
        .value_kind:     hidden_block_count_x
      - .offset:         36
        .size:           4
        .value_kind:     hidden_block_count_y
      - .offset:         40
        .size:           4
        .value_kind:     hidden_block_count_z
      - .offset:         44
        .size:           2
        .value_kind:     hidden_group_size_x
      - .offset:         46
        .size:           2
        .value_kind:     hidden_group_size_y
      - .offset:         48
        .size:           2
        .value_kind:     hidden_group_size_z
      - .offset:         50
        .size:           2
        .value_kind:     hidden_remainder_x
      - .offset:         52
        .size:           2
        .value_kind:     hidden_remainder_y
      - .offset:         54
        .size:           2
        .value_kind:     hidden_remainder_z
      - .offset:         72
        .size:           8
        .value_kind:     hidden_global_offset_x
      - .offset:         80
        .size:           8
        .value_kind:     hidden_global_offset_y
      - .offset:         88
        .size:           8
        .value_kind:     hidden_global_offset_z
      - .offset:         96
        .size:           2
        .value_kind:     hidden_grid_dims
    .group_segment_fixed_size: 0
    .kernarg_segment_align: 8
    .kernarg_segment_size: 288
    .language:       OpenCL C
    .language_version:
      - 2
      - 0
    .max_flat_workgroup_size: 1024
    .name:           _Z15Type_to_fp8_cvtIdLb1EEvPT_PfS2_m
    .private_segment_fixed_size: 0
    .sgpr_count:     11
    .sgpr_spill_count: 0
    .symbol:         _Z15Type_to_fp8_cvtIdLb1EEvPT_PfS2_m.kd
    .uniform_work_group_size: 1
    .uses_dynamic_stack: false
    .vgpr_count:     20
    .vgpr_spill_count: 0
    .wavefront_size: 32
    .workgroup_processor_mode: 1
  - .args:
      - .address_space:  global
        .offset:         0
        .size:           8
        .value_kind:     global_buffer
      - .address_space:  global
        .offset:         8
        .size:           8
        .value_kind:     global_buffer
      - .address_space:  global
        .offset:         16
        .size:           8
        .value_kind:     global_buffer
      - .offset:         24
        .size:           8
        .value_kind:     by_value
      - .offset:         32
        .size:           4
        .value_kind:     hidden_block_count_x
      - .offset:         36
        .size:           4
        .value_kind:     hidden_block_count_y
      - .offset:         40
        .size:           4
        .value_kind:     hidden_block_count_z
      - .offset:         44
        .size:           2
        .value_kind:     hidden_group_size_x
      - .offset:         46
        .size:           2
        .value_kind:     hidden_group_size_y
      - .offset:         48
        .size:           2
        .value_kind:     hidden_group_size_z
      - .offset:         50
        .size:           2
        .value_kind:     hidden_remainder_x
      - .offset:         52
        .size:           2
        .value_kind:     hidden_remainder_y
      - .offset:         54
        .size:           2
        .value_kind:     hidden_remainder_z
      - .offset:         72
        .size:           8
        .value_kind:     hidden_global_offset_x
      - .offset:         80
        .size:           8
        .value_kind:     hidden_global_offset_y
      - .offset:         88
        .size:           8
        .value_kind:     hidden_global_offset_z
      - .offset:         96
        .size:           2
        .value_kind:     hidden_grid_dims
    .group_segment_fixed_size: 0
    .kernarg_segment_align: 8
    .kernarg_segment_size: 288
    .language:       OpenCL C
    .language_version:
      - 2
      - 0
    .max_flat_workgroup_size: 1024
    .name:           _Z15Type_to_fp8_cvtIdLb0EEvPT_PfS2_m
    .private_segment_fixed_size: 0
    .sgpr_count:     14
    .sgpr_spill_count: 0
    .symbol:         _Z15Type_to_fp8_cvtIdLb0EEvPT_PfS2_m.kd
    .uniform_work_group_size: 1
    .uses_dynamic_stack: false
    .vgpr_count:     21
    .vgpr_spill_count: 0
    .wavefront_size: 32
    .workgroup_processor_mode: 1
amdhsa.target:   amdgcn-amd-amdhsa--gfx1201
amdhsa.version:
  - 1
  - 2
...

	.end_amdgpu_metadata
